;; amdgpu-corpus repo=ROCm/rocFFT kind=compiled arch=gfx1030 opt=O3
	.text
	.amdgcn_target "amdgcn-amd-amdhsa--gfx1030"
	.amdhsa_code_object_version 6
	.protected	fft_rtc_fwd_len595_factors_7_17_5_wgs_51_tpt_17_halfLds_half_ip_CI_unitstride_sbrr_dirReg ; -- Begin function fft_rtc_fwd_len595_factors_7_17_5_wgs_51_tpt_17_halfLds_half_ip_CI_unitstride_sbrr_dirReg
	.globl	fft_rtc_fwd_len595_factors_7_17_5_wgs_51_tpt_17_halfLds_half_ip_CI_unitstride_sbrr_dirReg
	.p2align	8
	.type	fft_rtc_fwd_len595_factors_7_17_5_wgs_51_tpt_17_halfLds_half_ip_CI_unitstride_sbrr_dirReg,@function
fft_rtc_fwd_len595_factors_7_17_5_wgs_51_tpt_17_halfLds_half_ip_CI_unitstride_sbrr_dirReg: ; @fft_rtc_fwd_len595_factors_7_17_5_wgs_51_tpt_17_halfLds_half_ip_CI_unitstride_sbrr_dirReg
; %bb.0:
	s_load_dwordx4 s[8:11], s[4:5], 0x0
	v_mul_u32_u24_e32 v1, 0xf10, v0
	s_clause 0x1
	s_load_dwordx2 s[2:3], s[4:5], 0x50
	s_load_dwordx2 s[12:13], s[4:5], 0x18
	v_mov_b32_e32 v5, 0
	v_mov_b32_e32 v3, 0
	;; [unrolled: 1-line block ×3, first 2 shown]
	v_lshrrev_b32_e32 v1, 16, v1
	v_mad_u64_u32 v[1:2], null, s6, 3, v[1:2]
	v_mov_b32_e32 v2, v5
	v_mov_b32_e32 v10, v2
	;; [unrolled: 1-line block ×3, first 2 shown]
	s_waitcnt lgkmcnt(0)
	v_cmp_lt_u64_e64 s0, s[10:11], 2
	s_and_b32 vcc_lo, exec_lo, s0
	s_cbranch_vccnz .LBB0_8
; %bb.1:
	s_load_dwordx2 s[0:1], s[4:5], 0x10
	v_mov_b32_e32 v3, 0
	v_mov_b32_e32 v8, v2
	s_add_u32 s6, s12, 8
	v_mov_b32_e32 v4, 0
	v_mov_b32_e32 v7, v1
	s_addc_u32 s7, s13, 0
	s_mov_b64 s[16:17], 1
	s_waitcnt lgkmcnt(0)
	s_add_u32 s14, s0, 8
	s_addc_u32 s15, s1, 0
.LBB0_2:                                ; =>This Inner Loop Header: Depth=1
	s_load_dwordx2 s[18:19], s[14:15], 0x0
                                        ; implicit-def: $vgpr9_vgpr10
	s_mov_b32 s0, exec_lo
	s_waitcnt lgkmcnt(0)
	v_or_b32_e32 v6, s19, v8
	v_cmpx_ne_u64_e32 0, v[5:6]
	s_xor_b32 s1, exec_lo, s0
	s_cbranch_execz .LBB0_4
; %bb.3:                                ;   in Loop: Header=BB0_2 Depth=1
	v_cvt_f32_u32_e32 v2, s18
	v_cvt_f32_u32_e32 v6, s19
	s_sub_u32 s0, 0, s18
	s_subb_u32 s20, 0, s19
	v_fmac_f32_e32 v2, 0x4f800000, v6
	v_rcp_f32_e32 v2, v2
	v_mul_f32_e32 v2, 0x5f7ffffc, v2
	v_mul_f32_e32 v6, 0x2f800000, v2
	v_trunc_f32_e32 v6, v6
	v_fmac_f32_e32 v2, 0xcf800000, v6
	v_cvt_u32_f32_e32 v6, v6
	v_cvt_u32_f32_e32 v2, v2
	v_mul_lo_u32 v9, s0, v6
	v_mul_hi_u32 v10, s0, v2
	v_mul_lo_u32 v11, s20, v2
	v_add_nc_u32_e32 v9, v10, v9
	v_mul_lo_u32 v10, s0, v2
	v_add_nc_u32_e32 v9, v9, v11
	v_mul_hi_u32 v11, v2, v10
	v_mul_lo_u32 v12, v2, v9
	v_mul_hi_u32 v13, v2, v9
	v_mul_hi_u32 v14, v6, v10
	v_mul_lo_u32 v10, v6, v10
	v_mul_hi_u32 v15, v6, v9
	v_mul_lo_u32 v9, v6, v9
	v_add_co_u32 v11, vcc_lo, v11, v12
	v_add_co_ci_u32_e32 v12, vcc_lo, 0, v13, vcc_lo
	v_add_co_u32 v10, vcc_lo, v11, v10
	v_add_co_ci_u32_e32 v10, vcc_lo, v12, v14, vcc_lo
	v_add_co_ci_u32_e32 v11, vcc_lo, 0, v15, vcc_lo
	v_add_co_u32 v9, vcc_lo, v10, v9
	v_add_co_ci_u32_e32 v10, vcc_lo, 0, v11, vcc_lo
	v_add_co_u32 v2, vcc_lo, v2, v9
	v_add_co_ci_u32_e32 v6, vcc_lo, v6, v10, vcc_lo
	v_mul_hi_u32 v9, s0, v2
	v_mul_lo_u32 v11, s20, v2
	v_mul_lo_u32 v10, s0, v6
	v_add_nc_u32_e32 v9, v9, v10
	v_mul_lo_u32 v10, s0, v2
	v_add_nc_u32_e32 v9, v9, v11
	v_mul_hi_u32 v11, v2, v10
	v_mul_lo_u32 v12, v2, v9
	v_mul_hi_u32 v13, v2, v9
	v_mul_hi_u32 v14, v6, v10
	v_mul_lo_u32 v10, v6, v10
	v_mul_hi_u32 v15, v6, v9
	v_mul_lo_u32 v9, v6, v9
	v_add_co_u32 v11, vcc_lo, v11, v12
	v_add_co_ci_u32_e32 v12, vcc_lo, 0, v13, vcc_lo
	v_add_co_u32 v10, vcc_lo, v11, v10
	v_add_co_ci_u32_e32 v10, vcc_lo, v12, v14, vcc_lo
	v_add_co_ci_u32_e32 v11, vcc_lo, 0, v15, vcc_lo
	v_add_co_u32 v9, vcc_lo, v10, v9
	v_add_co_ci_u32_e32 v10, vcc_lo, 0, v11, vcc_lo
	v_add_co_u32 v2, vcc_lo, v2, v9
	v_add_co_ci_u32_e32 v6, vcc_lo, v6, v10, vcc_lo
	v_mul_hi_u32 v15, v7, v2
	v_mad_u64_u32 v[11:12], null, v8, v2, 0
	v_mad_u64_u32 v[9:10], null, v7, v6, 0
	v_mad_u64_u32 v[13:14], null, v8, v6, 0
	v_add_co_u32 v2, vcc_lo, v15, v9
	v_add_co_ci_u32_e32 v6, vcc_lo, 0, v10, vcc_lo
	v_add_co_u32 v2, vcc_lo, v2, v11
	v_add_co_ci_u32_e32 v2, vcc_lo, v6, v12, vcc_lo
	v_add_co_ci_u32_e32 v6, vcc_lo, 0, v14, vcc_lo
	v_add_co_u32 v2, vcc_lo, v2, v13
	v_add_co_ci_u32_e32 v6, vcc_lo, 0, v6, vcc_lo
	v_mul_lo_u32 v11, s19, v2
	v_mad_u64_u32 v[9:10], null, s18, v2, 0
	v_mul_lo_u32 v12, s18, v6
	v_sub_co_u32 v9, vcc_lo, v7, v9
	v_add3_u32 v10, v10, v12, v11
	v_sub_nc_u32_e32 v11, v8, v10
	v_subrev_co_ci_u32_e64 v11, s0, s19, v11, vcc_lo
	v_add_co_u32 v12, s0, v2, 2
	v_add_co_ci_u32_e64 v13, s0, 0, v6, s0
	v_sub_co_u32 v14, s0, v9, s18
	v_sub_co_ci_u32_e32 v10, vcc_lo, v8, v10, vcc_lo
	v_subrev_co_ci_u32_e64 v11, s0, 0, v11, s0
	v_cmp_le_u32_e32 vcc_lo, s18, v14
	v_cmp_eq_u32_e64 s0, s19, v10
	v_cndmask_b32_e64 v14, 0, -1, vcc_lo
	v_cmp_le_u32_e32 vcc_lo, s19, v11
	v_cndmask_b32_e64 v15, 0, -1, vcc_lo
	v_cmp_le_u32_e32 vcc_lo, s18, v9
	;; [unrolled: 2-line block ×3, first 2 shown]
	v_cndmask_b32_e64 v16, 0, -1, vcc_lo
	v_cmp_eq_u32_e32 vcc_lo, s19, v11
	v_cndmask_b32_e64 v9, v16, v9, s0
	v_cndmask_b32_e32 v11, v15, v14, vcc_lo
	v_add_co_u32 v14, vcc_lo, v2, 1
	v_add_co_ci_u32_e32 v15, vcc_lo, 0, v6, vcc_lo
	v_cmp_ne_u32_e32 vcc_lo, 0, v11
	v_cndmask_b32_e32 v10, v15, v13, vcc_lo
	v_cndmask_b32_e32 v11, v14, v12, vcc_lo
	v_cmp_ne_u32_e32 vcc_lo, 0, v9
	v_cndmask_b32_e32 v10, v6, v10, vcc_lo
	v_cndmask_b32_e32 v9, v2, v11, vcc_lo
.LBB0_4:                                ;   in Loop: Header=BB0_2 Depth=1
	s_andn2_saveexec_b32 s0, s1
	s_cbranch_execz .LBB0_6
; %bb.5:                                ;   in Loop: Header=BB0_2 Depth=1
	v_cvt_f32_u32_e32 v2, s18
	s_sub_i32 s1, 0, s18
	v_rcp_iflag_f32_e32 v2, v2
	v_mul_f32_e32 v2, 0x4f7ffffe, v2
	v_cvt_u32_f32_e32 v2, v2
	v_mul_lo_u32 v6, s1, v2
	v_mul_hi_u32 v6, v2, v6
	v_add_nc_u32_e32 v2, v2, v6
	v_mul_hi_u32 v2, v7, v2
	v_mul_lo_u32 v6, v2, s18
	v_add_nc_u32_e32 v9, 1, v2
	v_sub_nc_u32_e32 v6, v7, v6
	v_subrev_nc_u32_e32 v10, s18, v6
	v_cmp_le_u32_e32 vcc_lo, s18, v6
	v_cndmask_b32_e32 v6, v6, v10, vcc_lo
	v_cndmask_b32_e32 v2, v2, v9, vcc_lo
	v_mov_b32_e32 v10, v5
	v_cmp_le_u32_e32 vcc_lo, s18, v6
	v_add_nc_u32_e32 v9, 1, v2
	v_cndmask_b32_e32 v9, v2, v9, vcc_lo
.LBB0_6:                                ;   in Loop: Header=BB0_2 Depth=1
	s_or_b32 exec_lo, exec_lo, s0
	s_load_dwordx2 s[0:1], s[6:7], 0x0
	v_mul_lo_u32 v2, v10, s18
	v_mul_lo_u32 v6, v9, s19
	v_mad_u64_u32 v[11:12], null, v9, s18, 0
	s_add_u32 s16, s16, 1
	s_addc_u32 s17, s17, 0
	s_add_u32 s6, s6, 8
	s_addc_u32 s7, s7, 0
	;; [unrolled: 2-line block ×3, first 2 shown]
	v_add3_u32 v2, v12, v6, v2
	v_sub_co_u32 v6, vcc_lo, v7, v11
	v_sub_co_ci_u32_e32 v2, vcc_lo, v8, v2, vcc_lo
	s_waitcnt lgkmcnt(0)
	v_mul_lo_u32 v7, s1, v6
	v_mul_lo_u32 v2, s0, v2
	v_mad_u64_u32 v[3:4], null, s0, v6, v[3:4]
	v_cmp_ge_u64_e64 s0, s[16:17], s[10:11]
	s_and_b32 vcc_lo, exec_lo, s0
	v_add3_u32 v4, v7, v4, v2
	s_cbranch_vccnz .LBB0_8
; %bb.7:                                ;   in Loop: Header=BB0_2 Depth=1
	v_mov_b32_e32 v7, v9
	v_mov_b32_e32 v8, v10
	s_branch .LBB0_2
.LBB0_8:
	s_lshl_b64 s[0:1], s[10:11], 3
	v_mul_hi_u32 v8, 0xf0f0f10, v0
	s_add_u32 s0, s12, s0
	s_addc_u32 s1, s13, s1
	v_mov_b32_e32 v61, 0
	s_load_dwordx2 s[0:1], s[0:1], 0x0
	s_load_dwordx2 s[4:5], s[4:5], 0x20
	v_mov_b32_e32 v54, 0
	v_mov_b32_e32 v56, 0
	;; [unrolled: 1-line block ×17, first 2 shown]
                                        ; implicit-def: $vgpr77
                                        ; implicit-def: $vgpr65
                                        ; implicit-def: $vgpr78
                                        ; implicit-def: $vgpr66
                                        ; implicit-def: $vgpr74
                                        ; implicit-def: $vgpr70
                                        ; implicit-def: $vgpr73
                                        ; implicit-def: $vgpr76
                                        ; implicit-def: $vgpr69
                                        ; implicit-def: $vgpr80
                                        ; implicit-def: $vgpr79
                                        ; implicit-def: $vgpr81
                                        ; implicit-def: $vgpr68
                                        ; implicit-def: $vgpr71
                                        ; implicit-def: $vgpr55
                                        ; implicit-def: $vgpr59
                                        ; implicit-def: $vgpr52
                                        ; implicit-def: $vgpr53
                                        ; implicit-def: $vgpr32
                                        ; implicit-def: $vgpr49
	s_waitcnt lgkmcnt(0)
	v_mul_lo_u32 v13, s0, v10
	v_mul_lo_u32 v14, s1, v9
	v_mad_u64_u32 v[11:12], null, s0, v9, v[3:4]
	v_mul_u32_u24_e32 v3, 17, v8
	v_cmp_gt_u64_e32 vcc_lo, s[4:5], v[9:10]
	v_mov_b32_e32 v4, 0
	v_sub_nc_u32_e32 v20, v0, v3
	v_add3_u32 v12, v14, v12, v13
	v_mov_b32_e32 v3, 0
	v_lshlrev_b64 v[22:23], 2, v[11:12]
	s_and_saveexec_b32 s1, vcc_lo
	s_cbranch_execz .LBB0_10
; %bb.9:
	v_mov_b32_e32 v21, 0
	v_add_co_u32 v0, s0, s2, v22
	v_add_co_ci_u32_e64 v6, s0, s3, v23, s0
	v_lshlrev_b64 v[2:3], 2, v[20:21]
	v_or_b32_e32 v4, 0x220, v20
	v_mov_b32_e32 v5, v21
	v_add_co_u32 v8, s0, v0, v2
	v_add_co_ci_u32_e64 v9, s0, v6, v3, s0
	v_lshlrev_b64 v[2:3], 2, v[4:5]
	v_add_co_u32 v10, s0, 0x800, v8
	global_load_dword v12, v[8:9], off offset:1020
	v_add_co_ci_u32_e64 v11, s0, 0, v9, s0
	v_add_co_u32 v2, s0, v0, v2
	v_add_co_ci_u32_e64 v3, s0, v6, v3, s0
	s_clause 0x21
	global_load_dword v65, v[8:9], off offset:2040
	global_load_dword v69, v[10:11], off offset:60
	;; [unrolled: 1-line block ×4, first 2 shown]
	global_load_dword v66, v[2:3], off
	global_load_dword v54, v[8:9], off
	global_load_dword v50, v[8:9], off offset:68
	global_load_dword v28, v[8:9], off offset:136
	;; [unrolled: 1-line block ×28, first 2 shown]
	s_waitcnt vmcnt(20)
	v_lshrrev_b32_e32 v77, 16, v0
	s_waitcnt vmcnt(19)
	v_lshrrev_b32_e32 v80, 16, v13
	;; [unrolled: 2-line block ×4, first 2 shown]
	s_waitcnt vmcnt(16)
	v_perm_b32 v68, v13, v16, 0x5040100
	s_waitcnt vmcnt(15)
	v_perm_b32 v55, v14, v17, 0x5040100
	s_waitcnt vmcnt(14)
	v_perm_b32 v52, v15, v18, 0x5040100
	v_perm_b32 v71, v69, v16, 0x7060302
	v_perm_b32 v59, v66, v17, 0x7060302
	s_waitcnt vmcnt(10)
	v_lshrrev_b32_e32 v70, 16, v19
	s_waitcnt vmcnt(9)
	v_perm_b32 v53, v73, v18, 0x7060302
	s_waitcnt vmcnt(7)
	v_perm_b32 v32, v19, v21, 0x5040100
	v_perm_b32 v79, v0, v12, 0x5040100
	v_perm_b32 v81, v65, v12, 0x7060302
	s_waitcnt vmcnt(6)
	v_perm_b32 v49, v74, v21, 0x7060302
.LBB0_10:
	s_or_b32 exec_lo, exec_lo, s1
	s_waitcnt vmcnt(2)
	v_perm_b32 v82, v72, v7, 0x5040100
	v_add_f16_e32 v8, v65, v61
	v_perm_b32 v84, v61, v7, 0x7060302
	v_sub_f16_sdwa v9, v72, v77 dst_sel:DWORD dst_unused:UNUSED_PAD src0_sel:WORD_1 src1_sel:DWORD
	v_mul_hi_u32 v0, 0xaaaaaaab, v1
	v_pk_add_f16 v7, v79, v82
	v_perm_b32 v85, v63, v6, 0x5040100
	v_pk_add_f16 v12, v84, v81 neg_lo:[0,1] neg_hi:[0,1]
	v_add_f16_e32 v10, v69, v56
	v_perm_b32 v83, v56, v6, 0x7060302
	v_alignbit_b32 v13, v8, v7, 16
	v_add_f16_sdwa v14, v8, v7 dst_sel:DWORD dst_unused:UNUSED_PAD src0_sel:DWORD src1_sel:WORD_1
	v_sub_f16_e32 v8, v8, v7
	v_add_f16_e32 v15, v9, v12
	v_pack_b32_f16 v16, v9, v12
	v_pk_add_f16 v13, v7, v13 neg_lo:[0,1] neg_hi:[0,1]
	v_sub_f16_sdwa v9, v9, v12 dst_sel:DWORD dst_unused:UNUSED_PAD src0_sel:DWORD src1_sel:WORD_1
	v_add_f16_e32 v7, v14, v7
	v_mul_f16_e32 v14, 0xba52, v8
	v_pk_add_f16 v16, v12, v16 neg_lo:[0,1] neg_hi:[0,1]
	v_pk_mul_f16 v17, 0x39e02b26, v13
	v_add_f16_sdwa v12, v12, v15 dst_sel:DWORD dst_unused:UNUSED_PAD src0_sel:WORD_1 src1_sel:DWORD
	v_mul_f16_e32 v9, 0x3b00, v9
	v_add_f16_e32 v15, v7, v54
	v_lshrrev_b32_e32 v0, 1, v0
	v_alignbit_b32 v14, v14, v17, 16
	v_mul_f16_e32 v18, 0x370e, v12
	v_pk_fma_f16 v9, 0x3574b846, v16, v9 op_sel_hi:[1,1,0] neg_lo:[0,1,0] neg_hi:[0,1,1]
	v_fmamk_f16 v7, v7, 0xbcab, v15
	v_lshl_add_u32 v0, v0, 1, v0
	v_pk_fma_f16 v13, 0x39e02b26, v13, v14 neg_lo:[0,1,0] neg_hi:[0,1,0]
	v_pk_mul_f16 v6, 0x3574b846, v16
	v_pk_add_f16 v9, v9, v18 op_sel_hi:[1,0]
	v_pk_add_f16 v14, v68, v85
	v_sub_nc_u32_e32 v0, v1, v0
	v_pk_add_f16 v13, v13, v7 op_sel_hi:[1,0]
	v_fmamk_f16 v1, v8, 0x3a52, v17
	v_sub_f16_sdwa v11, v63, v80 dst_sel:DWORD dst_unused:UNUSED_PAD src0_sel:WORD_1 src1_sel:DWORD
	v_add_f16_sdwa v16, v6, v6 dst_sel:DWORD dst_unused:UNUSED_PAD src0_sel:WORD_1 src1_sel:DWORD
	v_mul_u32_u24_e32 v0, 0x253, v0
	v_pk_add_f16 v6, v13, v9
	v_pk_add_f16 v9, v13, v9 neg_lo:[0,1] neg_hi:[0,1]
	v_alignbit_b32 v13, v10, v14, 16
	v_add_f16_e32 v17, v1, v7
	v_pk_add_f16 v1, v83, v71 neg_lo:[0,1] neg_hi:[0,1]
	v_fmac_f16_e32 v16, 0x370e, v12
	v_bfi_b32 v8, 0xffff, v6, v9
	v_alignbit_b32 v7, v9, v6, 16
	v_add_f16_sdwa v6, v10, v14 dst_sel:DWORD dst_unused:UNUSED_PAD src0_sel:DWORD src1_sel:WORD_1
	v_sub_f16_e32 v9, v10, v14
	v_pk_add_f16 v10, v14, v13 neg_lo:[0,1] neg_hi:[0,1]
	v_add_f16_e32 v12, v11, v1
	v_pack_b32_f16 v13, v11, v1
	v_sub_f16_sdwa v11, v11, v1 dst_sel:DWORD dst_unused:UNUSED_PAD src0_sel:DWORD src1_sel:WORD_1
	v_add_f16_e32 v6, v6, v14
	v_mul_f16_e32 v14, 0xba52, v9
	v_pk_mul_f16 v18, 0x39e02b26, v10
	v_pk_add_f16 v13, v1, v13 neg_lo:[0,1] neg_hi:[0,1]
	v_add_f16_sdwa v12, v1, v12 dst_sel:DWORD dst_unused:UNUSED_PAD src0_sel:WORD_1 src1_sel:DWORD
	v_mul_f16_e32 v1, 0x3b00, v11
	v_lshlrev_b32_e32 v0, 1, v0
	v_alignbit_b32 v11, v14, v18, 16
	v_add_f16_e32 v14, v6, v50
	v_fmamk_f16 v9, v9, 0x3a52, v18
	v_mul_f16_e32 v18, 0x370e, v12
	v_pk_fma_f16 v1, 0x3574b846, v13, v1 op_sel_hi:[1,1,0] neg_lo:[0,1,0] neg_hi:[0,1,1]
	v_pk_fma_f16 v10, 0x39e02b26, v10, v11 neg_lo:[0,1,0] neg_hi:[0,1,0]
	v_pk_mul_f16 v11, 0x3574b846, v13
	v_fmamk_f16 v13, v6, 0xbcab, v14
	v_add_f16_e32 v6, v17, v16
	v_add_nc_u32_e32 v51, 0, v0
	v_pk_add_f16 v18, v1, v18 op_sel_hi:[1,0]
	v_perm_b32 v1, v64, v5, 0x5040100
	v_add_f16_sdwa v11, v11, v11 dst_sel:DWORD dst_unused:UNUSED_PAD src0_sel:WORD_1 src1_sel:DWORD
	v_pk_add_f16 v10, v10, v13 op_sel_hi:[1,0]
	v_pack_b32_f16 v6, v15, v6
	v_mad_u32_u24 v75, v20, 14, v51
	v_add_f16_e32 v9, v9, v13
	v_add_f16_e32 v13, v66, v57
	v_pk_add_f16 v15, v55, v1
	v_fmac_f16_e32 v11, 0x370e, v12
	v_pk_add_f16 v12, v10, v18
	v_pk_add_f16 v10, v10, v18 neg_lo:[0,1] neg_hi:[0,1]
	ds_write_b96 v75, v[6:8]
	v_perm_b32 v86, v57, v5, 0x7060302
	v_alignbit_b32 v8, v13, v15, 16
	v_sub_f16_sdwa v18, v64, v78 dst_sel:DWORD dst_unused:UNUSED_PAD src0_sel:WORD_1 src1_sel:DWORD
	v_bfi_b32 v7, 0xffff, v12, v10
	v_alignbit_b32 v6, v10, v12, 16
	v_pk_add_f16 v19, v86, v59 neg_lo:[0,1] neg_hi:[0,1]
	v_add_f16_sdwa v10, v13, v15 dst_sel:DWORD dst_unused:UNUSED_PAD src0_sel:DWORD src1_sel:WORD_1
	v_sub_f16_e32 v12, v13, v15
	v_pk_add_f16 v8, v15, v8 neg_lo:[0,1] neg_hi:[0,1]
	v_add_f16_e32 v5, v9, v11
	v_pack_b32_f16 v13, v18, v19
	v_add_f16_e32 v21, v18, v19
	v_sub_f16_sdwa v18, v18, v19 dst_sel:DWORD dst_unused:UNUSED_PAD src0_sel:DWORD src1_sel:WORD_1
	v_mul_f16_e32 v24, 0xba52, v12
	v_pk_mul_f16 v25, 0x39e02b26, v8
	v_add_f16_e32 v10, v10, v15
	v_pk_add_f16 v13, v19, v13 neg_lo:[0,1] neg_hi:[0,1]
	v_mul_f16_e32 v15, 0x3b00, v18
	v_add_f16_sdwa v18, v19, v21 dst_sel:DWORD dst_unused:UNUSED_PAD src0_sel:WORD_1 src1_sel:DWORD
	v_alignbit_b32 v19, v24, v25, 16
	v_add_f16_e32 v21, v10, v28
	v_pack_b32_f16 v5, v14, v5
	v_pk_fma_f16 v14, 0x3574b846, v13, v15 op_sel_hi:[1,1,0] neg_lo:[0,1,0] neg_hi:[0,1,1]
	v_mul_f16_e32 v15, 0x370e, v18
	v_pk_fma_f16 v8, 0x39e02b26, v8, v19 neg_lo:[0,1,0] neg_hi:[0,1,0]
	v_fmamk_f16 v10, v10, 0xbcab, v21
	v_fmamk_f16 v12, v12, 0x3a52, v25
	v_pk_mul_f16 v13, 0x3574b846, v13
	v_perm_b32 v87, v62, v4, 0x5040100
	v_pk_add_f16 v14, v14, v15 op_sel_hi:[1,0]
	v_pk_add_f16 v8, v8, v10 op_sel_hi:[1,0]
	v_add_f16_e32 v10, v12, v10
	v_add_f16_sdwa v12, v13, v13 dst_sel:DWORD dst_unused:UNUSED_PAD src0_sel:WORD_1 src1_sel:DWORD
	v_add_f16_e32 v13, v73, v58
	v_pk_add_f16 v15, v52, v87
	v_perm_b32 v88, v58, v4, 0x7060302
	v_pk_add_f16 v19, v8, v14
	v_pk_add_f16 v4, v8, v14 neg_lo:[0,1] neg_hi:[0,1]
	v_fmac_f16_e32 v12, 0x370e, v18
	v_alignbit_b32 v8, v13, v15, 16
	v_sub_f16_sdwa v14, v62, v76 dst_sel:DWORD dst_unused:UNUSED_PAD src0_sel:WORD_1 src1_sel:DWORD
	v_pk_add_f16 v18, v88, v53 neg_lo:[0,1] neg_hi:[0,1]
	ds_write_b96 v75, v[5:7] offset:238
	v_add_f16_sdwa v5, v13, v15 dst_sel:DWORD dst_unused:UNUSED_PAD src0_sel:DWORD src1_sel:WORD_1
	v_sub_f16_e32 v7, v13, v15
	v_pk_add_f16 v8, v15, v8 neg_lo:[0,1] neg_hi:[0,1]
	v_pack_b32_f16 v6, v14, v18
	v_add_f16_e32 v13, v14, v18
	v_sub_f16_sdwa v14, v14, v18 dst_sel:DWORD dst_unused:UNUSED_PAD src0_sel:DWORD src1_sel:WORD_1
	v_mul_f16_e32 v24, 0xba52, v7
	v_pk_mul_f16 v25, 0x39e02b26, v8
	v_add_f16_e32 v5, v5, v15
	v_pk_add_f16 v15, v18, v6 neg_lo:[0,1] neg_hi:[0,1]
	v_mul_f16_e32 v14, 0x3b00, v14
	v_add_f16_sdwa v13, v18, v13 dst_sel:DWORD dst_unused:UNUSED_PAD src0_sel:WORD_1 src1_sel:DWORD
	v_alignbit_b32 v18, v24, v25, 16
	v_add_f16_e32 v24, v5, v27
	v_add_f16_e32 v29, v10, v12
	v_pk_fma_f16 v14, 0x3574b846, v15, v14 op_sel_hi:[1,1,0] neg_lo:[0,1,0] neg_hi:[0,1,1]
	v_pk_mul_f16 v15, 0x3574b846, v15
	v_mul_f16_e32 v26, 0x370e, v13
	v_pk_fma_f16 v8, 0x39e02b26, v8, v18 neg_lo:[0,1,0] neg_hi:[0,1,0]
	v_fmamk_f16 v18, v5, 0xbcab, v24
	v_fmamk_f16 v7, v7, 0x3a52, v25
	v_add_f16_sdwa v15, v15, v15 dst_sel:DWORD dst_unused:UNUSED_PAD src0_sel:WORD_1 src1_sel:DWORD
	v_bfi_b32 v6, 0xffff, v19, v4
	v_pk_add_f16 v14, v14, v26 op_sel_hi:[1,0]
	v_pk_add_f16 v8, v8, v18 op_sel_hi:[1,0]
	v_alignbit_b32 v5, v4, v19, 16
	v_pack_b32_f16 v4, v21, v29
	v_add_f16_e32 v7, v7, v18
	v_fmac_f16_e32 v15, 0x370e, v13
	s_waitcnt vmcnt(0)
	v_perm_b32 v89, v60, v3, 0x5040100
	v_pk_add_f16 v13, v8, v14
	v_pk_add_f16 v8, v8, v14 neg_lo:[0,1] neg_hi:[0,1]
	ds_write_b96 v75, v[4:6] offset:476
	v_add_f16_e32 v6, v7, v15
	v_add_f16_e32 v14, v74, v67
	v_pk_add_f16 v18, v32, v89
	v_perm_b32 v90, v67, v3, 0x7060302
	v_bfi_b32 v5, 0xffff, v13, v8
	v_alignbit_b32 v4, v8, v13, 16
	v_pack_b32_f16 v3, v24, v6
	v_alignbit_b32 v6, v14, v18, 16
	v_sub_f16_sdwa v8, v60, v70 dst_sel:DWORD dst_unused:UNUSED_PAD src0_sel:WORD_1 src1_sel:DWORD
	v_pk_add_f16 v13, v90, v49 neg_lo:[0,1] neg_hi:[0,1]
	v_sub_f16_e32 v16, v17, v16
	v_sub_f16_e32 v17, v14, v18
	v_pk_add_f16 v6, v18, v6 neg_lo:[0,1] neg_hi:[0,1]
	v_add_f16_sdwa v14, v14, v18 dst_sel:DWORD dst_unused:UNUSED_PAD src0_sel:DWORD src1_sel:WORD_1
	v_pack_b32_f16 v19, v8, v13
	v_add_f16_e32 v21, v8, v13
	v_mul_f16_e32 v24, 0xba52, v17
	v_pk_mul_f16 v25, 0x39e02b26, v6
	v_add_f16_e32 v14, v14, v18
	v_sub_f16_sdwa v8, v8, v13 dst_sel:DWORD dst_unused:UNUSED_PAD src0_sel:DWORD src1_sel:WORD_1
	v_pk_add_f16 v18, v13, v19 neg_lo:[0,1] neg_hi:[0,1]
	v_add_f16_sdwa v13, v13, v21 dst_sel:DWORD dst_unused:UNUSED_PAD src0_sel:WORD_1 src1_sel:DWORD
	v_alignbit_b32 v19, v24, v25, 16
	v_add_f16_e32 v21, v14, v2
	v_mul_f16_e32 v8, 0x3b00, v8
	v_pk_mul_f16 v24, 0x3574b846, v18
	v_fmamk_f16 v17, v17, 0x3a52, v25
	v_pk_fma_f16 v6, 0x39e02b26, v6, v19 neg_lo:[0,1,0] neg_hi:[0,1,0]
	v_fmamk_f16 v14, v14, 0xbcab, v21
	v_pk_fma_f16 v8, 0x3574b846, v18, v8 op_sel_hi:[1,1,0] neg_lo:[0,1,0] neg_hi:[0,1,1]
	v_mul_f16_e32 v18, 0x370e, v13
	v_add_f16_sdwa v19, v24, v24 dst_sel:DWORD dst_unused:UNUSED_PAD src0_sel:WORD_1 src1_sel:DWORD
	v_sub_f16_e32 v9, v9, v11
	v_add_f16_e32 v11, v17, v14
	v_pk_add_f16 v6, v6, v14 op_sel_hi:[1,0]
	v_pk_add_f16 v8, v8, v18 op_sel_hi:[1,0]
	v_fmac_f16_e32 v19, 0x370e, v13
	ds_write_b16 v75, v16 offset:12
	ds_write_b16 v75, v9 offset:250
	v_sub_f16_e32 v9, v10, v12
	v_cmp_eq_u32_e64 s0, 0, v20
	v_pk_add_f16 v10, v6, v8
	v_add_f16_e32 v12, v11, v19
	v_pk_add_f16 v8, v6, v8 neg_lo:[0,1] neg_hi:[0,1]
	v_sub_f16_e32 v47, v11, v19
	ds_write_b16 v75, v9 offset:488
	v_sub_f16_e32 v9, v7, v15
	v_bfi_b32 v6, 0xffff, v12, v10
	v_pack_b32_f16 v7, v8, v10
	v_lshlrev_b32_e32 v10, 1, v20
	v_alignbit_b32 v8, v47, v8, 16
	ds_write_b96 v75, v[3:5] offset:714
	ds_write_b16 v75, v9 offset:726
	ds_write_b16 v75, v21 offset:952
	ds_write_b96 v75, v[6:8] offset:954
	s_waitcnt lgkmcnt(0)
	v_add_nc_u32_e32 v21, v51, v10
	v_add3_u32 v26, 0, v10, v0
	s_barrier
	buffer_gl0_inv
	ds_read_u16 v96, v21
	ds_read_u16 v91, v26 offset:34
	ds_read_u16 v13, v26 offset:70
	;; [unrolled: 1-line block ×33, first 2 shown]
	v_add_nc_u32_e32 v95, 0xee, v75
	v_add_nc_u32_e32 v94, 0x1dc, v75
	;; [unrolled: 1-line block ×4, first 2 shown]
                                        ; implicit-def: $vgpr41
                                        ; implicit-def: $vgpr115
                                        ; implicit-def: $vgpr116
                                        ; implicit-def: $vgpr117
                                        ; implicit-def: $vgpr118
                                        ; implicit-def: $vgpr119
                                        ; implicit-def: $vgpr120
                                        ; implicit-def: $vgpr121
                                        ; implicit-def: $vgpr42
                                        ; implicit-def: $vgpr40
                                        ; implicit-def: $vgpr37
                                        ; implicit-def: $vgpr30
                                        ; implicit-def: $vgpr122
                                        ; implicit-def: $vgpr123
                                        ; implicit-def: $vgpr124
                                        ; implicit-def: $vgpr125
	s_and_saveexec_b32 s1, s0
	s_cbranch_execz .LBB0_12
; %bb.11:
	ds_read_u16 v47, v51 offset:68
	ds_read_u16 v41, v51 offset:138
	;; [unrolled: 1-line block ×17, first 2 shown]
.LBB0_12:
	s_or_b32 exec_lo, exec_lo, s1
	v_sub_f16_e32 v61, v61, v65
	v_add_f16_sdwa v65, v77, v72 dst_sel:DWORD dst_unused:UNUSED_PAD src0_sel:DWORD src1_sel:WORD_1
	v_sub_f16_e32 v57, v57, v66
	v_pk_add_f16 v66, v81, v84
	v_sub_f16_e32 v56, v56, v69
	v_pk_add_f16 v69, v82, v79 neg_lo:[0,1] neg_hi:[0,1]
	v_sub_f16_e32 v58, v58, v73
	v_add_f16_sdwa v62, v76, v62 dst_sel:DWORD dst_unused:UNUSED_PAD src0_sel:DWORD src1_sel:WORD_1
	v_add_f16_sdwa v72, v66, v65 dst_sel:DWORD dst_unused:UNUSED_PAD src0_sel:WORD_1 src1_sel:DWORD
	v_sub_f16_e32 v67, v67, v74
	v_sub_f16_sdwa v73, v65, v66 dst_sel:DWORD dst_unused:UNUSED_PAD src0_sel:DWORD src1_sel:WORD_1
	v_sub_f16_sdwa v74, v66, v66 dst_sel:DWORD dst_unused:UNUSED_PAD src0_sel:WORD_1 src1_sel:DWORD
	v_sub_f16_e32 v65, v66, v65
	v_add_f16_sdwa v76, v69, v69 dst_sel:DWORD dst_unused:UNUSED_PAD src0_sel:WORD_1 src1_sel:DWORD
	v_add_f16_e32 v66, v72, v66
	v_sub_f16_sdwa v72, v69, v69 dst_sel:DWORD dst_unused:UNUSED_PAD src0_sel:DWORD src1_sel:WORD_1
	v_sub_f16_e32 v77, v61, v69
	v_sub_f16_sdwa v69, v69, v61 dst_sel:DWORD dst_unused:UNUSED_PAD src0_sel:WORD_1 src1_sel:DWORD
	v_add_f16_e32 v61, v61, v76
	v_add_f16_sdwa v76, v66, v54 dst_sel:DWORD dst_unused:UNUSED_PAD src0_sel:DWORD src1_sel:WORD_1
	v_mul_f16_e32 v54, 0x2b26, v65
	v_mul_f16_e32 v72, 0xb846, v72
	v_add_f16_sdwa v64, v78, v64 dst_sel:DWORD dst_unused:UNUSED_PAD src0_sel:DWORD src1_sel:WORD_1
	v_mul_f16_e32 v65, 0x3a52, v74
	v_mul_f16_e32 v78, 0x3b00, v69
	v_fmamk_f16 v66, v66, 0xbcab, v76
	v_fmamk_f16 v74, v74, 0x3a52, v54
	v_fma_f16 v54, v73, 0x39e0, -v54
	v_fma_f16 v69, v69, 0x3b00, -v72
	v_add_f16_sdwa v63, v80, v63 dst_sel:DWORD dst_unused:UNUSED_PAD src0_sel:DWORD src1_sel:WORD_1
	v_fma_f16 v65, v73, 0xb9e0, -v65
	v_fmamk_f16 v73, v77, 0x3574, v72
	v_fma_f16 v77, v77, 0xb574, -v78
	v_add_f16_e32 v54, v54, v66
	v_fmac_f16_e32 v69, 0x370e, v61
	v_add_f16_sdwa v60, v70, v60 dst_sel:DWORD dst_unused:UNUSED_PAD src0_sel:DWORD src1_sel:WORD_1
	v_pk_add_f16 v70, v71, v83
	v_add_f16_e32 v65, v65, v66
	v_fmac_f16_e32 v77, 0x370e, v61
	v_add_f16_e32 v71, v69, v54
	v_sub_f16_e32 v54, v54, v69
	v_pk_add_f16 v68, v85, v68 neg_lo:[0,1] neg_hi:[0,1]
	v_add_f16_sdwa v69, v70, v63 dst_sel:DWORD dst_unused:UNUSED_PAD src0_sel:WORD_1 src1_sel:DWORD
	v_add_f16_e32 v72, v74, v66
	v_sub_f16_e32 v66, v65, v77
	v_add_f16_e32 v65, v77, v65
	v_sub_f16_sdwa v74, v63, v70 dst_sel:DWORD dst_unused:UNUSED_PAD src0_sel:DWORD src1_sel:WORD_1
	v_sub_f16_sdwa v77, v70, v70 dst_sel:DWORD dst_unused:UNUSED_PAD src0_sel:WORD_1 src1_sel:DWORD
	v_sub_f16_e32 v63, v70, v63
	v_add_f16_sdwa v78, v68, v68 dst_sel:DWORD dst_unused:UNUSED_PAD src0_sel:WORD_1 src1_sel:DWORD
	v_add_f16_e32 v69, v69, v70
	v_sub_f16_sdwa v70, v68, v68 dst_sel:DWORD dst_unused:UNUSED_PAD src0_sel:DWORD src1_sel:WORD_1
	v_sub_f16_e32 v79, v56, v68
	v_sub_f16_sdwa v68, v68, v56 dst_sel:DWORD dst_unused:UNUSED_PAD src0_sel:WORD_1 src1_sel:DWORD
	v_add_f16_e32 v56, v56, v78
	v_add_f16_sdwa v50, v69, v50 dst_sel:DWORD dst_unused:UNUSED_PAD src0_sel:DWORD src1_sel:WORD_1
	v_mul_f16_e32 v63, 0x2b26, v63
	v_mul_f16_e32 v78, 0x3a52, v77
	;; [unrolled: 1-line block ×4, first 2 shown]
	v_fmamk_f16 v69, v69, 0xbcab, v50
	v_fmamk_f16 v77, v77, 0x3a52, v63
	v_fma_f16 v63, v74, 0x39e0, -v63
	v_fma_f16 v74, v74, 0xb9e0, -v78
	v_fmamk_f16 v78, v79, 0x3574, v70
	v_fma_f16 v79, v79, 0xb574, -v80
	v_fma_f16 v68, v68, 0x3b00, -v70
	v_pk_add_f16 v59, v59, v86
	v_fmac_f16_e32 v73, 0x370e, v61
	v_add_f16_e32 v74, v74, v69
	v_fmac_f16_e32 v79, 0x370e, v56
	v_add_f16_e32 v63, v63, v69
	v_fmac_f16_e32 v68, 0x370e, v56
	v_pk_add_f16 v1, v1, v55 neg_lo:[0,1] neg_hi:[0,1]
	v_add_f16_sdwa v55, v59, v64 dst_sel:DWORD dst_unused:UNUSED_PAD src0_sel:WORD_1 src1_sel:DWORD
	v_sub_f16_e32 v61, v72, v73
	v_add_f16_e32 v70, v77, v69
	v_fmac_f16_e32 v78, 0x370e, v56
	v_add_f16_e32 v69, v73, v72
	v_sub_f16_e32 v56, v74, v79
	v_add_f16_e32 v73, v68, v63
	v_sub_f16_e32 v63, v63, v68
	v_add_f16_e32 v68, v79, v74
	v_sub_f16_sdwa v74, v64, v59 dst_sel:DWORD dst_unused:UNUSED_PAD src0_sel:DWORD src1_sel:WORD_1
	v_sub_f16_sdwa v77, v59, v59 dst_sel:DWORD dst_unused:UNUSED_PAD src0_sel:WORD_1 src1_sel:DWORD
	v_sub_f16_e32 v64, v59, v64
	v_add_f16_sdwa v79, v1, v1 dst_sel:DWORD dst_unused:UNUSED_PAD src0_sel:WORD_1 src1_sel:DWORD
	v_add_f16_e32 v55, v55, v59
	v_sub_f16_sdwa v59, v1, v1 dst_sel:DWORD dst_unused:UNUSED_PAD src0_sel:DWORD src1_sel:WORD_1
	v_sub_f16_e32 v80, v57, v1
	v_sub_f16_sdwa v1, v1, v57 dst_sel:DWORD dst_unused:UNUSED_PAD src0_sel:WORD_1 src1_sel:DWORD
	v_add_f16_e32 v57, v57, v79
	v_add_f16_sdwa v28, v55, v28 dst_sel:DWORD dst_unused:UNUSED_PAD src0_sel:DWORD src1_sel:WORD_1
	v_mul_f16_e32 v64, 0x2b26, v64
	v_mul_f16_e32 v79, 0x3a52, v77
	;; [unrolled: 1-line block ×4, first 2 shown]
	v_fmamk_f16 v55, v55, 0xbcab, v28
	v_fmamk_f16 v77, v77, 0x3a52, v64
	v_fma_f16 v64, v74, 0x39e0, -v64
	v_fma_f16 v74, v74, 0xb9e0, -v79
	;; [unrolled: 1-line block ×3, first 2 shown]
	v_fmamk_f16 v79, v80, 0x3574, v59
	v_add_f16_e32 v59, v77, v55
	v_pk_add_f16 v53, v53, v88
	v_add_f16_e32 v74, v74, v55
	v_add_f16_e32 v55, v64, v55
	v_fmac_f16_e32 v1, 0x370e, v57
	v_sub_f16_e32 v72, v70, v78
	v_fma_f16 v80, v80, 0xb574, -v81
	v_add_f16_e32 v64, v78, v70
	v_fmac_f16_e32 v79, 0x370e, v57
	v_add_f16_e32 v78, v1, v55
	v_sub_f16_e32 v81, v55, v1
	v_pk_add_f16 v1, v87, v52 neg_lo:[0,1] neg_hi:[0,1]
	v_add_f16_sdwa v52, v53, v62 dst_sel:DWORD dst_unused:UNUSED_PAD src0_sel:WORD_1 src1_sel:DWORD
	v_fmac_f16_e32 v80, 0x370e, v57
	v_sub_f16_sdwa v55, v62, v53 dst_sel:DWORD dst_unused:UNUSED_PAD src0_sel:DWORD src1_sel:WORD_1
	v_sub_f16_sdwa v57, v53, v53 dst_sel:DWORD dst_unused:UNUSED_PAD src0_sel:WORD_1 src1_sel:DWORD
	v_sub_f16_e32 v62, v53, v62
	v_add_f16_e32 v52, v52, v53
	v_sub_f16_sdwa v53, v1, v1 dst_sel:DWORD dst_unused:UNUSED_PAD src0_sel:DWORD src1_sel:WORD_1
	v_sub_f16_e32 v77, v74, v80
	v_add_f16_e32 v74, v80, v74
	v_add_f16_sdwa v80, v1, v1 dst_sel:DWORD dst_unused:UNUSED_PAD src0_sel:WORD_1 src1_sel:DWORD
	v_sub_f16_e32 v82, v58, v1
	v_sub_f16_sdwa v1, v1, v58 dst_sel:DWORD dst_unused:UNUSED_PAD src0_sel:WORD_1 src1_sel:DWORD
	v_add_f16_sdwa v27, v52, v27 dst_sel:DWORD dst_unused:UNUSED_PAD src0_sel:DWORD src1_sel:WORD_1
	v_mul_f16_e32 v62, 0x2b26, v62
	v_mul_f16_e32 v53, 0xb846, v53
	v_add_f16_e32 v58, v58, v80
	v_mul_f16_e32 v80, 0x3a52, v57
	v_mul_f16_e32 v83, 0x3b00, v1
	v_fmamk_f16 v52, v52, 0xbcab, v27
	v_fmamk_f16 v57, v57, 0x3a52, v62
	v_fma_f16 v62, v55, 0x39e0, -v62
	v_fma_f16 v1, v1, 0x3b00, -v53
	v_pk_add_f16 v49, v49, v90
	v_fma_f16 v55, v55, 0xb9e0, -v80
	v_fmamk_f16 v80, v82, 0x3574, v53
	v_add_f16_e32 v62, v62, v52
	v_fmac_f16_e32 v1, 0x370e, v58
	v_fma_f16 v53, v82, 0xb574, -v83
	v_sub_f16_e32 v70, v59, v79
	v_add_f16_e32 v57, v57, v52
	v_fmac_f16_e32 v80, 0x370e, v58
	v_add_f16_e32 v84, v1, v62
	v_sub_f16_e32 v62, v62, v1
	v_pk_add_f16 v1, v89, v32 neg_lo:[0,1] neg_hi:[0,1]
	v_add_f16_sdwa v32, v49, v60 dst_sel:DWORD dst_unused:UNUSED_PAD src0_sel:WORD_1 src1_sel:DWORD
	v_add_f16_e32 v52, v55, v52
	v_fmac_f16_e32 v53, 0x370e, v58
	v_add_f16_e32 v79, v79, v59
	v_sub_f16_sdwa v55, v60, v49 dst_sel:DWORD dst_unused:UNUSED_PAD src0_sel:DWORD src1_sel:WORD_1
	v_sub_f16_sdwa v58, v49, v49 dst_sel:DWORD dst_unused:UNUSED_PAD src0_sel:WORD_1 src1_sel:DWORD
	v_sub_f16_e32 v59, v49, v60
	v_add_f16_sdwa v60, v1, v1 dst_sel:DWORD dst_unused:UNUSED_PAD src0_sel:WORD_1 src1_sel:DWORD
	v_add_f16_e32 v32, v32, v49
	v_sub_f16_sdwa v49, v1, v1 dst_sel:DWORD dst_unused:UNUSED_PAD src0_sel:DWORD src1_sel:WORD_1
	v_sub_f16_e32 v85, v67, v1
	v_sub_f16_sdwa v1, v1, v67 dst_sel:DWORD dst_unused:UNUSED_PAD src0_sel:WORD_1 src1_sel:DWORD
	v_add_f16_e32 v60, v67, v60
	v_add_f16_sdwa v2, v32, v2 dst_sel:DWORD dst_unused:UNUSED_PAD src0_sel:DWORD src1_sel:WORD_1
	v_mul_f16_e32 v59, 0x2b26, v59
	v_mul_f16_e32 v67, 0x3a52, v58
	;; [unrolled: 1-line block ×4, first 2 shown]
	v_fmamk_f16 v32, v32, 0xbcab, v2
	v_fmamk_f16 v58, v58, 0x3a52, v59
	v_fma_f16 v59, v55, 0x39e0, -v59
	v_fma_f16 v55, v55, 0xb9e0, -v67
	v_fmamk_f16 v67, v85, 0x3574, v49
	v_fma_f16 v1, v1, 0x3b00, -v49
	v_fma_f16 v49, v85, 0xb574, -v86
	v_add_f16_e32 v58, v58, v32
	v_add_f16_e32 v59, v59, v32
	;; [unrolled: 1-line block ×3, first 2 shown]
	v_fmac_f16_e32 v67, 0x370e, v60
	v_fmac_f16_e32 v49, 0x370e, v60
	;; [unrolled: 1-line block ×3, first 2 shown]
	v_sub_f16_e32 v82, v57, v80
	v_sub_f16_e32 v83, v52, v53
	v_add_f16_e32 v85, v53, v52
	v_pack_b32_f16 v54, v54, v65
	v_pack_b32_f16 v53, v66, v71
	;; [unrolled: 1-line block ×3, first 2 shown]
	v_add_f16_e32 v80, v80, v57
	v_pack_b32_f16 v57, v63, v68
	v_pack_b32_f16 v56, v56, v73
	v_pack_b32_f16 v55, v50, v72
	v_sub_f16_e32 v86, v58, v67
	v_sub_f16_e32 v87, v32, v49
	v_add_f16_e32 v88, v1, v59
	v_sub_f16_e32 v89, v59, v1
	v_add_f16_e32 v32, v49, v32
	v_add_f16_e32 v1, v67, v58
	v_pack_b32_f16 v60, v81, v74
	v_pack_b32_f16 v59, v77, v78
	v_pack_b32_f16 v58, v28, v70
	s_waitcnt lgkmcnt(0)
	s_barrier
	buffer_gl0_inv
	ds_write_b96 v75, v[52:54]
	ds_write_b16 v75, v69 offset:12
	ds_write_b96 v95, v[55:57]
	ds_write_b16 v95, v64 offset:12
	ds_write_b96 v94, v[58:60]
	v_pack_b32_f16 v54, v62, v85
	v_pack_b32_f16 v53, v83, v84
	;; [unrolled: 1-line block ×6, first 2 shown]
	ds_write_b16 v94, v79 offset:12
	ds_write_b96 v93, v[52:54]
	ds_write_b16 v93, v80 offset:12
	ds_write_b16 v92, v2
	ds_write_b96 v92, v[55:57] offset:2
	s_waitcnt lgkmcnt(0)
	s_barrier
	buffer_gl0_inv
	ds_read_u16 v64, v21
	ds_read_u16 v32, v26 offset:34
	ds_read_u16 v58, v26 offset:70
	;; [unrolled: 1-line block ×33, first 2 shown]
                                        ; implicit-def: $vgpr131
                                        ; implicit-def: $vgpr132
                                        ; implicit-def: $vgpr133
                                        ; implicit-def: $vgpr134
                                        ; implicit-def: $vgpr135
                                        ; implicit-def: $vgpr136
                                        ; implicit-def: $vgpr137
                                        ; implicit-def: $vgpr138
                                        ; implicit-def: $vgpr126
                                        ; implicit-def: $vgpr127
                                        ; implicit-def: $vgpr128
                                        ; implicit-def: $vgpr130
                                        ; implicit-def: $vgpr139
                                        ; implicit-def: $vgpr140
                                        ; implicit-def: $vgpr142
                                        ; implicit-def: $vgpr143
	s_and_saveexec_b32 s1, s0
	s_cbranch_execz .LBB0_14
; %bb.13:
	ds_read_u16 v1, v51 offset:68
	ds_read_u16 v131, v51 offset:138
	;; [unrolled: 1-line block ×17, first 2 shown]
.LBB0_14:
	s_or_b32 exec_lo, exec_lo, s1
	v_and_b32_e32 v2, 0xff, v20
	v_add_nc_u32_e32 v28, 17, v20
	v_mov_b32_e32 v51, 6
	v_mul_lo_u16 v2, v2, 37
	v_lshrrev_b16 v2, 8, v2
	v_sub_nc_u16 v27, v20, v2
	v_lshrrev_b16 v27, 1, v27
	v_and_b32_e32 v27, 0x7f, v27
	v_add_nc_u16 v2, v27, v2
	v_and_b32_e32 v27, 0xff, v28
	v_lshrrev_b16 v112, 2, v2
	v_mul_lo_u16 v27, v27, 37
	v_mul_lo_u16 v2, v112, 7
	v_lshrrev_b16 v70, 8, v27
	v_sub_nc_u16 v111, v20, v2
	v_sub_nc_u16 v27, v28, v70
	v_lshlrev_b32_sdwa v2, v51, v111 dst_sel:DWORD dst_unused:UNUSED_PAD src0_sel:DWORD src1_sel:BYTE_0
	s_clause 0x3
	global_load_dwordx4 v[146:149], v2, s[8:9]
	global_load_dwordx4 v[150:153], v2, s[8:9] offset:16
	global_load_dwordx4 v[154:157], v2, s[8:9] offset:32
	;; [unrolled: 1-line block ×3, first 2 shown]
	v_lshrrev_b16 v2, 1, v27
	v_add_nc_u32_e32 v27, 34, v20
	v_and_b32_e32 v2, 0x7f, v2
	v_add_nc_u16 v2, v2, v70
	v_and_b32_e32 v70, 0xff, v27
	v_lshrrev_b16 v113, 2, v2
	v_mul_lo_u16 v2, v70, 37
	v_mul_lo_u16 v70, v113, 7
	v_lshrrev_b16 v2, 8, v2
	v_sub_nc_u16 v114, v28, v70
	v_sub_nc_u16 v70, v27, v2
	v_lshlrev_b32_sdwa v72, v51, v114 dst_sel:DWORD dst_unused:UNUSED_PAD src0_sel:DWORD src1_sel:BYTE_0
	v_lshrrev_b16 v70, 1, v70
	s_clause 0x1
	global_load_dwordx4 v[162:165], v72, s[8:9]
	global_load_dwordx4 v[166:169], v72, s[8:9] offset:16
	v_and_b32_e32 v70, 0x7f, v70
	s_clause 0x1
	global_load_dwordx4 v[170:173], v72, s[8:9] offset:32
	global_load_dwordx4 v[174:177], v72, s[8:9] offset:48
	v_add_nc_u16 v2, v70, v2
	v_lshrrev_b16 v2, 2, v2
	v_mul_lo_u16 v2, v2, 7
	v_sub_nc_u16 v2, v27, v2
	v_lshlrev_b32_sdwa v51, v51, v2 dst_sel:DWORD dst_unused:UNUSED_PAD src0_sel:DWORD src1_sel:BYTE_0
	s_clause 0x3
	global_load_dwordx4 v[178:181], v51, s[8:9]
	global_load_dwordx4 v[182:185], v51, s[8:9] offset:16
	global_load_dwordx4 v[186:189], v51, s[8:9] offset:32
	;; [unrolled: 1-line block ×3, first 2 shown]
	s_waitcnt vmcnt(0) lgkmcnt(0)
	s_barrier
	buffer_gl0_inv
	v_mul_f16_sdwa v106, v13, v146 dst_sel:DWORD dst_unused:UNUSED_PAD src0_sel:DWORD src1_sel:WORD_1
	v_mul_f16_sdwa v76, v66, v147 dst_sel:DWORD dst_unused:UNUSED_PAD src0_sel:DWORD src1_sel:WORD_1
	;; [unrolled: 1-line block ×29, first 2 shown]
	v_fmac_f16_e32 v106, v58, v146
	v_fma_f16 v107, v45, v147, -v76
	v_fmac_f16_e32 v105, v66, v147
	v_fma_f16 v101, v36, v148, -v77
	;; [unrolled: 2-line block ×3, first 2 shown]
	v_fma_f16 v87, v43, v151, -v88
	v_fmac_f16_e32 v80, v61, v152
	v_fma_f16 v76, v5, v153, -v98
	v_fmac_f16_e32 v72, v84, v154
	v_fma_f16 v84, v38, v155, -v110
	v_fma_f16 v88, v19, v156, -v194
	;; [unrolled: 1-line block ×3, first 2 shown]
	v_fmac_f16_e32 v95, v102, v158
	v_fma_f16 v102, v31, v159, -v197
	v_fmac_f16_e32 v104, v71, v160
	v_fma_f16 v110, v35, v161, -v199
	v_fmac_f16_e32 v103, v145, v161
	v_mul_f16_sdwa v19, v68, v162 dst_sel:DWORD dst_unused:UNUSED_PAD src0_sel:DWORD src1_sel:WORD_1
	v_mul_f16_sdwa v71, v4, v162 dst_sel:DWORD dst_unused:UNUSED_PAD src0_sel:DWORD src1_sel:WORD_1
	v_mul_f16_sdwa v31, v63, v163 dst_sel:DWORD dst_unused:UNUSED_PAD src0_sel:DWORD src1_sel:WORD_1
	v_mul_f16_sdwa v66, v6, v163 dst_sel:DWORD dst_unused:UNUSED_PAD src0_sel:DWORD src1_sel:WORD_1
	v_mul_f16_sdwa v35, v60, v164 dst_sel:DWORD dst_unused:UNUSED_PAD src0_sel:DWORD src1_sel:WORD_1
	v_mul_f16_sdwa v61, v10, v164 dst_sel:DWORD dst_unused:UNUSED_PAD src0_sel:DWORD src1_sel:WORD_1
	v_mul_f16_sdwa v48, v144, v165 dst_sel:DWORD dst_unused:UNUSED_PAD src0_sel:DWORD src1_sel:WORD_1
	v_mul_f16_sdwa v145, v56, v166 dst_sel:DWORD dst_unused:UNUSED_PAD src0_sel:DWORD src1_sel:WORD_1
	v_mul_f16_sdwa v148, v67, v169 dst_sel:DWORD dst_unused:UNUSED_PAD src0_sel:DWORD src1_sel:WORD_1
	v_mul_f16_sdwa v94, v9, v149 dst_sel:DWORD dst_unused:UNUSED_PAD src0_sel:DWORD src1_sel:WORD_1
	v_mul_f16_sdwa v195, v50, v157 dst_sel:DWORD dst_unused:UNUSED_PAD src0_sel:DWORD src1_sel:WORD_1
	v_mul_f16_sdwa v90, v3, v157 dst_sel:DWORD dst_unused:UNUSED_PAD src0_sel:DWORD src1_sel:WORD_1
	v_fma_f16 v109, v13, v146, -v51
	v_fma_f16 v97, v9, v149, -v83
	v_fmac_f16_e32 v89, v75, v150
	v_fmac_f16_e32 v85, v69, v151
	v_fma_f16 v83, v25, v152, -v93
	v_fmac_f16_e32 v70, v54, v153
	v_fma_f16 v77, v46, v154, -v108
	v_fmac_f16_e32 v81, v74, v155
	v_fmac_f16_e32 v100, v78, v159
	v_mul_f16_sdwa v158, v132, v179 dst_sel:DWORD dst_unused:UNUSED_PAD src0_sel:DWORD src1_sel:WORD_1
	v_fma_f16 v108, v17, v160, -v198
	v_mul_f16_sdwa v58, v15, v165 dst_sel:DWORD dst_unused:UNUSED_PAD src0_sel:DWORD src1_sel:WORD_1
	v_mul_f16_sdwa v54, v34, v166 dst_sel:DWORD dst_unused:UNUSED_PAD src0_sel:DWORD src1_sel:WORD_1
	;; [unrolled: 1-line block ×13, first 2 shown]
	v_fma_f16 v78, v4, v162, -v19
	v_mul_f16_sdwa v197, v143, v186 dst_sel:DWORD dst_unused:UNUSED_PAD src0_sel:DWORD src1_sel:WORD_1
	v_fmac_f16_e32 v71, v68, v162
	v_fma_f16 v74, v6, v163, -v31
	v_fmac_f16_e32 v66, v63, v163
	v_fma_f16 v68, v10, v164, -v35
	;; [unrolled: 2-line block ×3, first 2 shown]
	v_mul_f16_sdwa v19, v30, v190 dst_sel:DWORD dst_unused:UNUSED_PAD src0_sel:DWORD src1_sel:WORD_1
	v_mul_f16_sdwa v31, v37, v191 dst_sel:DWORD dst_unused:UNUSED_PAD src0_sel:DWORD src1_sel:WORD_1
	v_fma_f16 v60, v34, v166, -v145
	v_mul_f16_sdwa v34, v40, v192 dst_sel:DWORD dst_unused:UNUSED_PAD src0_sel:DWORD src1_sel:WORD_1
	v_mul_f16_sdwa v35, v42, v193 dst_sel:DWORD dst_unused:UNUSED_PAD src0_sel:DWORD src1_sel:WORD_1
	v_fma_f16 v48, v39, v169, -v148
	v_fma_f16 v39, v115, v179, -v158
	v_sub_f16_e32 v115, v106, v103
	v_fmac_f16_e32 v94, v55, v149
	v_fmac_f16_e32 v86, v65, v156
	v_fma_f16 v93, v3, v157, -v195
	v_fmac_f16_e32 v90, v50, v157
	v_mul_f16_sdwa v50, v33, v167 dst_sel:DWORD dst_unused:UNUSED_PAD src0_sel:DWORD src1_sel:WORD_1
	v_mul_f16_sdwa v44, v24, v170 dst_sel:DWORD dst_unused:UNUSED_PAD src0_sel:DWORD src1_sel:WORD_1
	;; [unrolled: 1-line block ×18, first 2 shown]
	v_fmac_f16_e32 v58, v144, v165
	v_mul_f16_sdwa v144, v130, v190 dst_sel:DWORD dst_unused:UNUSED_PAD src0_sel:DWORD src1_sel:WORD_1
	v_mul_f16_sdwa v165, v128, v191 dst_sel:DWORD dst_unused:UNUSED_PAD src0_sel:DWORD src1_sel:WORD_1
	;; [unrolled: 1-line block ×3, first 2 shown]
	v_fmac_f16_e32 v54, v56, v166
	v_fma_f16 v56, v33, v167, -v146
	v_mul_f16_sdwa v146, v126, v193 dst_sel:DWORD dst_unused:UNUSED_PAD src0_sel:DWORD src1_sel:WORD_1
	v_fmac_f16_e32 v46, v57, v171
	v_fma_f16 v57, v8, v172, -v151
	v_fmac_f16_e32 v51, v62, v172
	v_fma_f16 v62, v29, v173, -v152
	v_fmac_f16_e32 v75, v129, v177
	v_fmac_f16_e32 v38, v131, v178
	v_fma_f16 v33, v116, v180, -v159
	v_fma_f16 v29, v117, v181, -v160
	v_fma_f16 v8, v125, v186, -v197
	v_fmac_f16_e32 v19, v130, v190
	v_fmac_f16_e32 v31, v128, v191
	;; [unrolled: 1-line block ×4, first 2 shown]
	v_add_f16_e32 v116, v109, v110
	v_sub_f16_e32 v117, v105, v104
	v_mul_f16_e32 v125, 0xb5c8, v115
	v_mul_f16_e32 v126, 0xb964, v115
	;; [unrolled: 1-line block ×8, first 2 shown]
	v_mul_f16_sdwa v147, v49, v168 dst_sel:DWORD dst_unused:UNUSED_PAD src0_sel:DWORD src1_sel:WORD_1
	v_mul_f16_sdwa v45, v11, v168 dst_sel:DWORD dst_unused:UNUSED_PAD src0_sel:DWORD src1_sel:WORD_1
	;; [unrolled: 1-line block ×13, first 2 shown]
	v_fmac_f16_e32 v43, v67, v169
	v_fmac_f16_e32 v44, v53, v170
	v_fma_f16 v53, v14, v171, -v150
	v_fma_f16 v67, v18, v174, -v153
	v_fmac_f16_e32 v69, v82, v176
	v_fma_f16 v82, v16, v177, -v156
	v_fmac_f16_e32 v36, v132, v179
	v_fmac_f16_e32 v25, v133, v180
	;; [unrolled: 1-line block ×3, first 2 shown]
	v_fma_f16 v18, v118, v182, -v161
	v_fmac_f16_e32 v13, v135, v182
	v_fma_f16 v14, v119, v183, -v194
	v_fmac_f16_e32 v9, v136, v183
	v_fmac_f16_e32 v5, v137, v184
	;; [unrolled: 1-line block ×3, first 2 shown]
	v_fma_f16 v16, v123, v188, -v163
	v_add_f16_e32 v118, v107, v108
	v_sub_f16_e32 v119, v99, v100
	v_mul_f16_e32 v132, 0xb964, v117
	v_mul_f16_e32 v133, 0xbbf7, v117
	;; [unrolled: 1-line block ×8, first 2 shown]
	v_fma_f16 v156, v116, 0x3b76, -v125
	v_fma_f16 v163, v116, 0xbbdd, -v115
	v_fmac_f16_e32 v115, 0xbbdd, v116
	v_mul_f16_sdwa v164, v139, v189 dst_sel:DWORD dst_unused:UNUSED_PAD src0_sel:DWORD src1_sel:WORD_1
	v_fmac_f16_e32 v50, v52, v167
	v_fma_f16 v52, v11, v168, -v147
	v_fmac_f16_e32 v45, v49, v168
	v_fma_f16 v49, v24, v170, -v149
	v_fmac_f16_e32 v55, v141, v173
	v_fmac_f16_e32 v59, v73, v174
	v_fma_f16 v73, v12, v175, -v154
	v_fmac_f16_e32 v65, v79, v175
	v_fma_f16 v79, v7, v176, -v155
	v_fma_f16 v41, v41, v178, -v157
	;; [unrolled: 1-line block ×4, first 2 shown]
	v_fmac_f16_e32 v4, v143, v186
	v_fma_f16 v12, v124, v187, -v162
	v_fmac_f16_e32 v6, v142, v187
	v_fmac_f16_e32 v10, v140, v188
	;; [unrolled: 1-line block ×3, first 2 shown]
	v_fma_f16 v30, v30, v190, -v144
	v_fma_f16 v40, v40, v192, -v145
	v_add_f16_e32 v120, v101, v102
	v_sub_f16_e32 v121, v94, v95
	v_mul_f16_e32 v139, 0xbb29, v119
	v_mul_f16_e32 v140, 0xba62, v119
	;; [unrolled: 1-line block ×8, first 2 shown]
	v_fmac_f16_e32 v125, 0x3b76, v116
	v_fma_f16 v157, v116, 0x39e9, -v126
	v_fmac_f16_e32 v126, 0x39e9, v116
	v_fma_f16 v158, v116, 0x3722, -v127
	;; [unrolled: 2-line block ×7, first 2 shown]
	v_fma_f16 v170, v118, 0x3b76, -v117
	v_fmac_f16_e32 v117, 0x3b76, v118
	v_add_f16_e32 v156, v96, v156
	v_add_f16_e32 v115, v96, v115
	v_fma_f16 v24, v122, v189, -v164
	v_fma_f16 v37, v37, v191, -v165
	;; [unrolled: 1-line block ×3, first 2 shown]
	v_add_f16_e32 v122, v97, v98
	v_sub_f16_e32 v123, v89, v90
	v_mul_f16_e32 v146, 0xbbf7, v121
	v_mul_f16_e32 v147, 0xb1e1, v121
	;; [unrolled: 1-line block ×8, first 2 shown]
	v_fmac_f16_e32 v132, 0x39e9, v118
	v_fma_f16 v164, v118, 0x2de8, -v133
	v_fmac_f16_e32 v133, 0x2de8, v118
	v_fma_f16 v165, v118, 0xb8d2, -v134
	;; [unrolled: 2-line block ×7, first 2 shown]
	v_fma_f16 v177, v120, 0xbacd, -v119
	v_fmac_f16_e32 v119, 0xbacd, v120
	v_add_f16_e32 v125, v96, v125
	v_add_f16_e32 v157, v96, v157
	;; [unrolled: 1-line block ×17, first 2 shown]
	v_mul_f16_e32 v153, 0xbbb2, v123
	v_fmac_f16_e32 v139, 0x3722, v120
	v_fma_f16 v171, v120, 0xb8d2, -v140
	v_fmac_f16_e32 v140, 0xb8d2, v120
	v_fma_f16 v172, v120, 0xbbdd, -v141
	;; [unrolled: 2-line block ×7, first 2 shown]
	v_fma_f16 v184, v122, 0x39e9, -v121
	v_fmac_f16_e32 v121, 0x39e9, v122
	v_add_f16_e32 v125, v132, v125
	v_add_f16_e32 v132, v164, v157
	;; [unrolled: 1-line block ×16, first 2 shown]
	v_fmac_f16_e32 v146, 0x2de8, v122
	v_fma_f16 v178, v122, 0xbbdd, -v147
	v_fmac_f16_e32 v147, 0xbbdd, v122
	v_fma_f16 v179, v122, 0xb461, -v148
	;; [unrolled: 2-line block ×7, first 2 shown]
	v_add_f16_e32 v117, v139, v125
	v_add_f16_e32 v118, v171, v132
	;; [unrolled: 1-line block ×13, first 2 shown]
	v_mul_f16_e32 v121, 0xbb29, v123
	v_add_f16_e32 v129, v143, v129
	v_add_f16_e32 v119, v147, v125
	;; [unrolled: 1-line block ×11, first 2 shown]
	v_mul_f16_e32 v122, 0xb1e1, v123
	v_fma_f16 v135, v124, 0x3722, -v121
	v_mul_f16_e32 v136, 0x3bf7, v123
	v_add_f16_e32 v130, v144, v130
	v_add_f16_e32 v129, v150, v129
	v_fmac_f16_e32 v121, 0x3722, v124
	v_fma_f16 v137, v124, 0xbbdd, -v122
	v_add_f16_e32 v126, v135, v126
	v_fmac_f16_e32 v122, 0xbbdd, v124
	v_fma_f16 v135, v124, 0x2de8, -v136
	v_mul_f16_e32 v154, 0x3836, v123
	v_mul_f16_e32 v155, 0x3964, v123
	v_add_f16_e32 v131, v145, v131
	v_add_f16_e32 v130, v151, v130
	v_add_f16_e32 v121, v121, v127
	v_add_f16_e32 v127, v137, v128
	v_mul_f16_e32 v128, 0xb5c8, v123
	v_add_f16_e32 v122, v122, v129
	v_add_f16_e32 v129, v135, v132
	v_mul_f16_e32 v123, 0xba62, v123
	v_fmac_f16_e32 v136, 0x2de8, v124
	v_sub_f16_e32 v135, v85, v86
	v_fmac_f16_e32 v153, 0xb461, v124
	v_fma_f16 v185, v124, 0xbacd, -v154
	v_fmac_f16_e32 v154, 0xbacd, v124
	v_fma_f16 v186, v124, 0x39e9, -v155
	v_add_f16_e32 v117, v146, v117
	v_add_f16_e32 v131, v152, v131
	v_fmac_f16_e32 v155, 0x39e9, v124
	v_fma_f16 v132, v124, 0x3b76, -v128
	v_fmac_f16_e32 v128, 0x3b76, v124
	v_fma_f16 v137, v124, 0xb8d2, -v123
	v_fmac_f16_e32 v123, 0xb8d2, v124
	v_add_f16_e32 v124, v136, v130
	v_add_f16_e32 v130, v87, v88
	v_mul_f16_e32 v136, 0xba62, v135
	v_add_f16_e32 v117, v153, v117
	v_add_f16_e32 v132, v132, v133
	;; [unrolled: 1-line block ×4, first 2 shown]
	v_mul_f16_e32 v133, 0x3bb2, v135
	v_fma_f16 v134, v130, 0xb8d2, -v136
	v_fmac_f16_e32 v136, 0xb8d2, v130
	v_add_f16_e32 v115, v123, v115
	v_mul_f16_e32 v123, 0xb5c8, v135
	v_add_f16_e32 v118, v178, v118
	v_add_f16_e32 v119, v154, v119
	;; [unrolled: 1-line block ×4, first 2 shown]
	v_fma_f16 v137, v130, 0xb461, -v133
	v_add_f16_e32 v116, v134, v116
	v_add_f16_e32 v117, v136, v117
	v_fmac_f16_e32 v133, 0xb461, v130
	v_fma_f16 v134, v130, 0x3b76, -v123
	v_mul_f16_e32 v136, 0xb836, v135
	v_fmac_f16_e32 v123, 0x3b76, v130
	v_add_f16_e32 v118, v185, v118
	v_add_f16_e32 v119, v133, v119
	;; [unrolled: 1-line block ×3, first 2 shown]
	v_mul_f16_e32 v133, 0x3bf7, v135
	v_fma_f16 v134, v130, 0xbacd, -v136
	v_add_f16_e32 v123, v123, v125
	v_mul_f16_e32 v125, 0xb964, v135
	v_fmac_f16_e32 v136, 0xbacd, v130
	v_add_f16_e32 v118, v137, v118
	v_fma_f16 v137, v130, 0x2de8, -v133
	v_add_f16_e32 v126, v134, v126
	v_fmac_f16_e32 v133, 0x2de8, v130
	v_fma_f16 v134, v130, 0x39e9, -v125
	v_add_f16_e32 v121, v136, v121
	v_mul_f16_e32 v136, 0xb1e1, v135
	v_fmac_f16_e32 v125, 0x39e9, v130
	v_add_f16_e32 v122, v133, v122
	v_add_f16_e32 v129, v134, v129
	v_mul_f16_e32 v133, 0x3b29, v135
	v_fma_f16 v134, v130, 0xbbdd, -v136
	v_sub_f16_e32 v135, v80, v81
	v_add_f16_e32 v127, v137, v127
	v_fmac_f16_e32 v136, 0xbbdd, v130
	v_fma_f16 v137, v130, 0x3722, -v133
	v_fmac_f16_e32 v133, 0x3722, v130
	v_add_f16_e32 v124, v125, v124
	v_add_f16_e32 v125, v83, v84
	v_mul_f16_e32 v130, 0xb836, v135
	v_add_f16_e32 v132, v134, v132
	v_mul_f16_e32 v134, 0x3b29, v135
	v_add_f16_e32 v128, v136, v128
	v_add_f16_e32 v131, v137, v131
	v_fma_f16 v136, v125, 0xbacd, -v130
	v_fmac_f16_e32 v130, 0xbacd, v125
	v_add_f16_e32 v115, v133, v115
	v_mul_f16_e32 v133, 0xbbf7, v135
	v_fma_f16 v137, v125, 0x3722, -v134
	v_fmac_f16_e32 v134, 0x3722, v125
	v_add_f16_e32 v116, v136, v116
	v_add_f16_e32 v117, v130, v117
	v_fma_f16 v130, v125, 0x2de8, -v133
	v_add_f16_e32 v136, v137, v118
	v_mul_f16_e32 v118, 0x3a62, v135
	v_fmac_f16_e32 v133, 0x2de8, v125
	v_add_f16_e32 v134, v134, v119
	v_mul_f16_e32 v119, 0xb5c8, v135
	v_add_f16_e32 v120, v130, v120
	v_fma_f16 v130, v125, 0xb8d2, -v118
	v_add_f16_e32 v123, v133, v123
	v_mul_f16_e32 v133, 0xb1e1, v135
	v_fmac_f16_e32 v118, 0xb8d2, v125
	v_fma_f16 v137, v125, 0x3b76, -v119
	v_fmac_f16_e32 v119, 0x3b76, v125
	v_add_f16_e32 v126, v130, v126
	v_fma_f16 v130, v125, 0xbbdd, -v133
	v_add_f16_e32 v121, v118, v121
	v_mul_f16_e32 v118, 0x3964, v135
	v_add_f16_e32 v122, v119, v122
	v_mul_f16_e32 v119, 0xbbb2, v135
	v_fmac_f16_e32 v133, 0xbbdd, v125
	v_sub_f16_e32 v135, v70, v72
	v_add_f16_e32 v127, v137, v127
	v_add_f16_e32 v129, v130, v129
	v_fma_f16 v130, v125, 0x39e9, -v118
	v_fmac_f16_e32 v118, 0x39e9, v125
	v_fma_f16 v137, v125, 0xb461, -v119
	v_fmac_f16_e32 v119, 0xb461, v125
	v_add_f16_e32 v133, v133, v124
	v_add_f16_e32 v138, v76, v77
	v_mul_f16_e32 v124, 0xb1e1, v135
	v_mul_f16_e32 v125, 0x35c8, v135
	v_add_f16_e32 v130, v130, v132
	v_add_f16_e32 v132, v118, v128
	;; [unrolled: 1-line block ×3, first 2 shown]
	v_fma_f16 v118, v138, 0xbbdd, -v124
	v_fmac_f16_e32 v124, 0xbbdd, v138
	v_add_f16_e32 v137, v119, v115
	v_mul_f16_e32 v128, 0xb836, v135
	v_fma_f16 v119, v138, 0x3b76, -v125
	v_fmac_f16_e32 v125, 0x3b76, v138
	v_add_f16_e32 v118, v118, v116
	v_add_f16_e32 v115, v124, v117
	v_fma_f16 v117, v138, 0xbacd, -v128
	v_mul_f16_e32 v124, 0x3964, v135
	v_fmac_f16_e32 v128, 0xbacd, v138
	v_add_f16_e32 v116, v125, v134
	v_mul_f16_e32 v125, 0xba62, v135
	v_add_f16_e32 v119, v119, v136
	v_add_f16_e32 v120, v117, v120
	v_fma_f16 v134, v138, 0x39e9, -v124
	v_add_f16_e32 v117, v128, v123
	v_fmac_f16_e32 v124, 0x39e9, v138
	v_mul_f16_e32 v128, 0x3b29, v135
	v_fma_f16 v136, v138, 0xb8d2, -v125
	v_add_f16_e32 v123, v134, v126
	v_fmac_f16_e32 v125, 0xb8d2, v138
	v_add_f16_e32 v121, v124, v121
	v_fma_f16 v126, v138, 0x3722, -v128
	v_add_f16_e32 v124, v136, v127
	v_mul_f16_e32 v127, 0xbbb2, v135
	v_mul_f16_e32 v134, 0x3bf7, v135
	v_fmac_f16_e32 v128, 0x3722, v138
	v_sub_f16_e32 v136, v71, v75
	v_add_f16_e32 v122, v125, v122
	v_add_f16_e32 v125, v126, v129
	v_fma_f16 v129, v138, 0xb461, -v127
	v_fmac_f16_e32 v127, 0xb461, v138
	v_fma_f16 v135, v138, 0x2de8, -v134
	v_fmac_f16_e32 v134, 0x2de8, v138
	v_add_f16_e32 v126, v128, v133
	v_add_f16_e32 v133, v78, v82
	v_mul_f16_e32 v138, 0xb5c8, v136
	v_sub_f16_e32 v144, v66, v69
	v_add_f16_e32 v127, v127, v132
	v_add_f16_e32 v147, v74, v79
	;; [unrolled: 1-line block ×3, first 2 shown]
	v_fma_f16 v132, v133, 0x3b76, -v138
	v_fmac_f16_e32 v138, 0x3b76, v133
	v_mul_f16_e32 v148, 0xb964, v144
	v_add_f16_e32 v129, v135, v131
	v_mul_f16_e32 v131, 0xb964, v136
	v_add_f16_e32 v130, v134, v137
	v_mul_f16_e32 v134, 0xbb29, v136
	v_mul_f16_e32 v137, 0xbbf7, v136
	;; [unrolled: 1-line block ×6, first 2 shown]
	v_add_f16_e32 v132, v91, v132
	v_fma_f16 v150, v147, 0x39e9, -v148
	v_add_f16_e32 v138, v91, v138
	v_fmac_f16_e32 v148, 0x39e9, v147
	v_fma_f16 v135, v133, 0x39e9, -v131
	v_fmac_f16_e32 v131, 0x39e9, v133
	v_fma_f16 v140, v133, 0x3722, -v134
	v_fmac_f16_e32 v134, 0x3722, v133
	v_fma_f16 v141, v133, 0x2de8, -v137
	v_fmac_f16_e32 v137, 0x2de8, v133
	v_fma_f16 v142, v133, 0xb461, -v139
	v_fmac_f16_e32 v139, 0xb461, v133
	v_fma_f16 v146, v133, 0xb8d2, -v143
	v_fmac_f16_e32 v143, 0xb8d2, v133
	v_fma_f16 v149, v133, 0xbacd, -v145
	v_fmac_f16_e32 v145, 0xbacd, v133
	v_fma_f16 v151, v133, 0xbbdd, -v136
	v_mul_f16_e32 v152, 0xbbf7, v144
	v_fmac_f16_e32 v136, 0xbbdd, v133
	v_add_f16_e32 v132, v150, v132
	v_add_f16_e32 v133, v148, v138
	v_mul_f16_e32 v148, 0xba62, v144
	v_mul_f16_e32 v150, 0xb1e1, v144
	v_add_f16_e32 v135, v91, v135
	v_fma_f16 v138, v147, 0x2de8, -v152
	v_add_f16_e32 v140, v91, v140
	v_fma_f16 v153, v147, 0xb8d2, -v148
	;; [unrolled: 2-line block ×3, first 2 shown]
	v_add_f16_e32 v131, v91, v131
	v_fmac_f16_e32 v152, 0x2de8, v147
	v_add_f16_e32 v135, v138, v135
	v_add_f16_e32 v138, v153, v140
	;; [unrolled: 1-line block ×3, first 2 shown]
	v_mul_f16_e32 v141, 0x3836, v144
	v_add_f16_e32 v134, v91, v134
	v_fmac_f16_e32 v148, 0xb8d2, v147
	v_add_f16_e32 v131, v152, v131
	v_add_f16_e32 v139, v91, v139
	v_fma_f16 v152, v147, 0xbacd, -v141
	v_fmac_f16_e32 v141, 0xbacd, v147
	v_add_f16_e32 v134, v148, v134
	v_add_f16_e32 v137, v91, v137
	v_fmac_f16_e32 v150, 0xbbdd, v147
	v_mul_f16_e32 v148, 0x3bb2, v144
	v_add_f16_e32 v139, v141, v139
	v_mul_f16_e32 v141, 0x3b29, v144
	v_add_f16_e32 v143, v91, v143
	v_add_f16_e32 v137, v150, v137
	v_fma_f16 v153, v147, 0xb461, -v148
	v_fmac_f16_e32 v148, 0xb461, v147
	v_add_f16_e32 v149, v91, v149
	v_fma_f16 v150, v147, 0x3722, -v141
	v_add_f16_e32 v142, v91, v142
	v_add_f16_e32 v145, v91, v145
	v_fmac_f16_e32 v141, 0x3722, v147
	v_add_f16_e32 v143, v148, v143
	v_mul_f16_e32 v144, 0x35c8, v144
	v_add_f16_e32 v148, v150, v149
	v_sub_f16_e32 v149, v61, v65
	v_add_f16_e32 v142, v152, v142
	v_add_f16_e32 v141, v141, v145
	;; [unrolled: 1-line block ×3, first 2 shown]
	v_fma_f16 v150, v147, 0x3b76, -v144
	v_add_f16_e32 v151, v68, v73
	v_mul_f16_e32 v152, 0xbb29, v149
	v_fmac_f16_e32 v144, 0x3b76, v147
	v_add_f16_e32 v136, v91, v136
	v_add_f16_e32 v146, v91, v146
	;; [unrolled: 1-line block ×3, first 2 shown]
	v_mul_f16_e32 v147, 0xba62, v149
	v_fma_f16 v150, v151, 0x3722, -v152
	v_fmac_f16_e32 v152, 0x3722, v151
	v_add_f16_e32 v136, v144, v136
	v_mul_f16_e32 v144, 0x31e1, v149
	v_add_f16_e32 v146, v153, v146
	v_fma_f16 v153, v151, 0xb8d2, -v147
	v_add_f16_e32 v132, v150, v132
	v_add_f16_e32 v133, v152, v133
	v_fmac_f16_e32 v147, 0xb8d2, v151
	v_fma_f16 v150, v151, 0xbbdd, -v144
	v_mul_f16_e32 v152, 0x3bb2, v149
	v_fmac_f16_e32 v144, 0xbbdd, v151
	v_add_f16_e32 v135, v153, v135
	v_add_f16_e32 v131, v147, v131
	;; [unrolled: 1-line block ×3, first 2 shown]
	v_mul_f16_e32 v147, 0x3964, v149
	v_fma_f16 v150, v151, 0xb461, -v152
	v_add_f16_e32 v134, v144, v134
	v_mul_f16_e32 v144, 0xb5c8, v149
	v_fmac_f16_e32 v152, 0xb461, v151
	v_fma_f16 v153, v151, 0x39e9, -v147
	v_add_f16_e32 v140, v150, v140
	v_fmac_f16_e32 v147, 0x39e9, v151
	v_fma_f16 v150, v151, 0x3b76, -v144
	v_add_f16_e32 v137, v152, v137
	v_mul_f16_e32 v152, 0xbbf7, v149
	v_fmac_f16_e32 v144, 0x3b76, v151
	v_add_f16_e32 v139, v147, v139
	v_add_f16_e32 v146, v150, v146
	v_mul_f16_e32 v147, 0xb836, v149
	v_sub_f16_e32 v150, v58, v59
	v_add_f16_e32 v142, v153, v142
	v_fma_f16 v149, v151, 0x2de8, -v152
	v_fmac_f16_e32 v152, 0x2de8, v151
	v_fma_f16 v153, v151, 0xbacd, -v147
	v_fmac_f16_e32 v147, 0xbacd, v151
	v_add_f16_e32 v143, v144, v143
	v_add_f16_e32 v144, v63, v67
	v_mul_f16_e32 v151, 0xbbf7, v150
	v_add_f16_e32 v148, v149, v148
	v_add_f16_e32 v141, v152, v141
	v_mul_f16_e32 v149, 0xb1e1, v150
	v_add_f16_e32 v136, v147, v136
	v_fma_f16 v152, v144, 0x2de8, -v151
	v_fmac_f16_e32 v151, 0x2de8, v144
	v_mul_f16_e32 v147, 0x3bb2, v150
	v_add_f16_e32 v145, v153, v145
	v_fma_f16 v153, v144, 0xbbdd, -v149
	v_add_f16_e32 v132, v152, v132
	v_add_f16_e32 v133, v151, v133
	v_fmac_f16_e32 v149, 0xbbdd, v144
	v_fma_f16 v151, v144, 0xb461, -v147
	v_mul_f16_e32 v152, 0x35c8, v150
	v_fmac_f16_e32 v147, 0xb461, v144
	v_add_f16_e32 v135, v153, v135
	v_add_f16_e32 v131, v149, v131
	;; [unrolled: 1-line block ×3, first 2 shown]
	v_mul_f16_e32 v149, 0xbb29, v150
	v_fma_f16 v151, v144, 0x3b76, -v152
	v_add_f16_e32 v134, v147, v134
	v_mul_f16_e32 v147, 0xb836, v150
	v_fmac_f16_e32 v152, 0x3b76, v144
	v_fma_f16 v153, v144, 0x3722, -v149
	v_add_f16_e32 v140, v151, v140
	v_fmac_f16_e32 v149, 0x3722, v144
	v_fma_f16 v151, v144, 0xbacd, -v147
	v_add_f16_e32 v137, v152, v137
	v_mul_f16_e32 v152, 0x3a62, v150
	v_fmac_f16_e32 v147, 0xbacd, v144
	v_add_f16_e32 v139, v149, v139
	v_add_f16_e32 v146, v151, v146
	v_mul_f16_e32 v149, 0x3964, v150
	v_sub_f16_e32 v151, v54, v55
	v_add_f16_e32 v142, v153, v142
	v_fma_f16 v150, v144, 0xb8d2, -v152
	v_fmac_f16_e32 v152, 0xb8d2, v144
	v_fma_f16 v153, v144, 0x39e9, -v149
	v_fmac_f16_e32 v149, 0x39e9, v144
	v_add_f16_e32 v143, v147, v143
	v_add_f16_e32 v144, v60, v62
	v_mul_f16_e32 v147, 0xbbb2, v151
	v_add_f16_e32 v141, v152, v141
	v_add_f16_e32 v136, v149, v136
	v_mul_f16_e32 v149, 0x3964, v151
	v_add_f16_e32 v148, v150, v148
	v_fma_f16 v152, v144, 0xb461, -v147
	v_fmac_f16_e32 v147, 0xb461, v144
	v_mul_f16_e32 v150, 0x3836, v151
	v_add_f16_e32 v145, v153, v145
	v_add_f16_e32 v96, v96, v109
	;; [unrolled: 1-line block ×4, first 2 shown]
	v_fma_f16 v147, v144, 0x39e9, -v149
	v_fma_f16 v153, v144, 0xbacd, -v150
	v_fmac_f16_e32 v150, 0xbacd, v144
	v_mul_f16_e32 v152, 0xbb29, v151
	v_fmac_f16_e32 v149, 0x39e9, v144
	v_add_f16_e32 v138, v147, v138
	v_mul_f16_e32 v147, 0xb1e1, v151
	v_add_f16_e32 v135, v153, v135
	v_add_f16_e32 v131, v150, v131
	v_fma_f16 v150, v144, 0x3722, -v152
	v_add_f16_e32 v134, v149, v134
	v_mul_f16_e32 v149, 0x3bf7, v151
	v_fmac_f16_e32 v152, 0x3722, v144
	v_fma_f16 v153, v144, 0xbbdd, -v147
	v_fmac_f16_e32 v147, 0xbbdd, v144
	v_add_f16_e32 v140, v150, v140
	v_fma_f16 v150, v144, 0x2de8, -v149
	v_add_f16_e32 v137, v152, v137
	v_mul_f16_e32 v152, 0xb5c8, v151
	v_add_f16_e32 v139, v147, v139
	v_mul_f16_e32 v147, 0xba62, v151
	v_fmac_f16_e32 v149, 0x2de8, v144
	v_sub_f16_e32 v151, v50, v51
	v_add_f16_e32 v142, v153, v142
	v_add_f16_e32 v146, v150, v146
	v_fma_f16 v150, v144, 0x3b76, -v152
	v_fmac_f16_e32 v152, 0x3b76, v144
	v_fma_f16 v153, v144, 0xb8d2, -v147
	v_fmac_f16_e32 v147, 0xb8d2, v144
	v_add_f16_e32 v143, v149, v143
	v_add_f16_e32 v144, v56, v57
	v_mul_f16_e32 v149, 0xba62, v151
	v_add_f16_e32 v141, v152, v141
	v_add_f16_e32 v136, v147, v136
	v_mul_f16_e32 v147, 0xb5c8, v151
	v_add_f16_e32 v148, v150, v148
	v_fma_f16 v152, v144, 0xb8d2, -v149
	v_fmac_f16_e32 v149, 0xb8d2, v144
	v_mul_f16_e32 v150, 0x3bb2, v151
	v_add_f16_e32 v145, v153, v145
	v_add_f16_e32 v96, v96, v107
	;; [unrolled: 1-line block ×4, first 2 shown]
	v_fma_f16 v149, v144, 0x3b76, -v147
	v_fma_f16 v153, v144, 0xb461, -v150
	v_fmac_f16_e32 v150, 0xb461, v144
	v_mul_f16_e32 v152, 0xb836, v151
	v_fmac_f16_e32 v147, 0x3b76, v144
	v_add_f16_e32 v138, v149, v138
	v_mul_f16_e32 v149, 0x3bf7, v151
	v_add_f16_e32 v135, v153, v135
	v_add_f16_e32 v131, v150, v131
	v_fma_f16 v150, v144, 0xbacd, -v152
	v_add_f16_e32 v134, v147, v134
	v_mul_f16_e32 v147, 0xb964, v151
	v_fmac_f16_e32 v152, 0xbacd, v144
	v_fma_f16 v153, v144, 0x2de8, -v149
	v_fmac_f16_e32 v149, 0x2de8, v144
	v_add_f16_e32 v140, v150, v140
	v_fma_f16 v150, v144, 0x39e9, -v147
	v_add_f16_e32 v137, v152, v137
	v_mul_f16_e32 v152, 0xb1e1, v151
	v_add_f16_e32 v139, v149, v139
	v_mul_f16_e32 v149, 0x3b29, v151
	v_fmac_f16_e32 v147, 0x39e9, v144
	v_sub_f16_e32 v151, v45, v46
	v_add_f16_e32 v142, v153, v142
	v_add_f16_e32 v146, v150, v146
	v_fma_f16 v150, v144, 0xbbdd, -v152
	v_fmac_f16_e32 v152, 0xbbdd, v144
	v_fma_f16 v153, v144, 0x3722, -v149
	v_fmac_f16_e32 v149, 0x3722, v144
	v_add_f16_e32 v143, v147, v143
	v_add_f16_e32 v144, v52, v53
	v_mul_f16_e32 v147, 0xb836, v151
	v_add_f16_e32 v141, v152, v141
	v_add_f16_e32 v136, v149, v136
	v_mul_f16_e32 v149, 0xbbf7, v151
	v_add_f16_e32 v148, v150, v148
	v_fma_f16 v152, v144, 0xbacd, -v147
	v_fmac_f16_e32 v147, 0xbacd, v144
	v_mul_f16_e32 v150, 0x3b29, v151
	v_add_f16_e32 v145, v153, v145
	v_add_f16_e32 v96, v96, v101
	;; [unrolled: 1-line block ×4, first 2 shown]
	v_fma_f16 v147, v144, 0x2de8, -v149
	v_fma_f16 v153, v144, 0x3722, -v150
	v_fmac_f16_e32 v150, 0x3722, v144
	v_mul_f16_e32 v152, 0x3a62, v151
	v_fmac_f16_e32 v149, 0x2de8, v144
	v_add_f16_e32 v138, v147, v138
	v_mul_f16_e32 v147, 0xb5c8, v151
	v_add_f16_e32 v135, v153, v135
	v_add_f16_e32 v131, v150, v131
	v_fma_f16 v150, v144, 0xb8d2, -v152
	v_add_f16_e32 v134, v149, v134
	v_mul_f16_e32 v149, 0xb1e1, v151
	v_fmac_f16_e32 v152, 0xb8d2, v144
	v_fma_f16 v153, v144, 0x3b76, -v147
	v_fmac_f16_e32 v147, 0x3b76, v144
	v_add_f16_e32 v140, v150, v140
	v_fma_f16 v150, v144, 0xbbdd, -v149
	v_add_f16_e32 v137, v152, v137
	v_mul_f16_e32 v152, 0x3964, v151
	v_add_f16_e32 v139, v147, v139
	v_mul_f16_e32 v147, 0xbbb2, v151
	v_sub_f16_e32 v151, v43, v44
	v_add_f16_e32 v96, v96, v97
	v_add_f16_e32 v142, v153, v142
	;; [unrolled: 1-line block ×3, first 2 shown]
	v_fmac_f16_e32 v149, 0xbbdd, v144
	v_fma_f16 v150, v144, 0x39e9, -v152
	v_fmac_f16_e32 v152, 0x39e9, v144
	v_fma_f16 v153, v144, 0xb461, -v147
	v_fmac_f16_e32 v147, 0xb461, v144
	v_add_f16_e32 v144, v48, v49
	v_mul_f16_e32 v154, 0xb1e1, v151
	v_add_f16_e32 v96, v96, v92
	v_add_f16_e32 v143, v149, v143
	;; [unrolled: 1-line block ×3, first 2 shown]
	v_mul_f16_e32 v150, 0x35c8, v151
	v_fma_f16 v149, v144, 0xbbdd, -v154
	v_add_f16_e32 v96, v96, v87
	v_add_f16_e32 v91, v91, v78
	;; [unrolled: 1-line block ×3, first 2 shown]
	v_fma_f16 v147, v144, 0x3b76, -v150
	v_add_f16_e32 v132, v149, v132
	v_mul_f16_e32 v149, 0xb836, v151
	v_fmac_f16_e32 v150, 0x3b76, v144
	v_add_f16_e32 v96, v96, v83
	v_add_f16_e32 v91, v91, v74
	;; [unrolled: 1-line block ×3, first 2 shown]
	v_fma_f16 v147, v144, 0xbacd, -v149
	v_add_f16_e32 v131, v150, v131
	v_mul_f16_e32 v150, 0x3964, v151
	v_add_f16_e32 v96, v96, v76
	v_add_f16_e32 v91, v91, v68
	;; [unrolled: 1-line block ×3, first 2 shown]
	v_fmac_f16_e32 v149, 0xbacd, v144
	v_fma_f16 v147, v144, 0x39e9, -v150
	v_add_f16_e32 v96, v96, v77
	v_add_f16_e32 v91, v91, v63
	v_fmac_f16_e32 v150, 0x39e9, v144
	v_add_f16_e32 v134, v149, v134
	v_add_f16_e32 v140, v147, v140
	v_mul_f16_e32 v147, 0xba62, v151
	v_add_f16_e32 v96, v96, v84
	v_add_f16_e32 v91, v91, v60
	;; [unrolled: 1-line block ×3, first 2 shown]
	v_mul_f16_e32 v149, 0x3b29, v151
	v_fma_f16 v150, v144, 0xb8d2, -v147
	v_fmac_f16_e32 v147, 0xb8d2, v144
	v_add_f16_e32 v96, v96, v88
	v_add_f16_e32 v91, v91, v56
	;; [unrolled: 1-line block ×3, first 2 shown]
	v_fma_f16 v152, v144, 0x3722, -v149
	v_add_f16_e32 v139, v147, v139
	v_mul_f16_e32 v147, 0xbbb2, v151
	v_add_f16_e32 v96, v96, v93
	v_add_f16_e32 v91, v91, v52
	;; [unrolled: 1-line block ×3, first 2 shown]
	v_mul_f16_e32 v150, 0x3bf7, v151
	v_fma_f16 v151, v144, 0xb461, -v147
	v_add_f16_e32 v96, v96, v98
	v_add_f16_e32 v91, v91, v48
	v_fmac_f16_e32 v154, 0xbbdd, v144
	v_add_f16_e32 v146, v152, v146
	v_fmac_f16_e32 v149, 0x3722, v144
	v_fmac_f16_e32 v147, 0xb461, v144
	v_fma_f16 v152, v144, 0x2de8, -v150
	v_fmac_f16_e32 v150, 0x2de8, v144
	v_add_f16_e32 v144, v151, v148
	v_and_b32_e32 v148, 0xffff, v112
	v_mov_b32_e32 v112, 1
	v_add_f16_e32 v96, v96, v102
	v_add_f16_e32 v91, v91, v49
	;; [unrolled: 1-line block ×3, first 2 shown]
	v_mad_u32_u24 v147, 0xee, v148, 0
	v_lshlrev_b32_sdwa v111, v112, v111 dst_sel:DWORD dst_unused:UNUSED_PAD src0_sel:DWORD src1_sel:BYTE_0
	v_add_f16_e32 v96, v96, v108
	v_add_f16_e32 v148, v91, v53
	;; [unrolled: 1-line block ×4, first 2 shown]
	v_add3_u32 v91, v147, v111, v0
	v_add_f16_e32 v96, v96, v110
	v_add_f16_e32 v111, v148, v57
	;; [unrolled: 1-line block ×5, first 2 shown]
	ds_write_b16 v91, v96
	v_add_f16_e32 v96, v111, v62
	v_and_b32_e32 v111, 0xffff, v113
	v_lshlrev_b32_sdwa v113, v112, v114 dst_sel:DWORD dst_unused:UNUSED_PAD src0_sel:DWORD src1_sel:BYTE_0
	ds_write_b16 v91, v118 offset:14
	ds_write_b16 v91, v119 offset:28
	;; [unrolled: 1-line block ×6, first 2 shown]
	v_add_f16_e32 v96, v96, v67
	v_mad_u32_u24 v111, 0xee, v111, 0
	ds_write_b16 v91, v128 offset:98
	ds_write_b16 v91, v129 offset:112
	;; [unrolled: 1-line block ×6, first 2 shown]
	v_add_f16_e32 v96, v96, v73
	v_add_f16_e32 v114, v96, v79
	v_add3_u32 v96, v111, v113, v0
	v_add_f16_e32 v111, v114, v82
	ds_write_b16 v91, v121 offset:182
	ds_write_b16 v91, v117 offset:196
	;; [unrolled: 1-line block ×4, first 2 shown]
	ds_write_b16 v96, v111
	ds_write_b16 v96, v132 offset:14
	ds_write_b16 v96, v135 offset:28
	;; [unrolled: 1-line block ×16, first 2 shown]
	s_and_saveexec_b32 s1, s0
	s_cbranch_execz .LBB0_16
; %bb.15:
	v_sub_f16_e32 v127, v38, v35
	v_add_f16_e32 v119, v41, v42
	v_sub_f16_e32 v125, v36, v34
	v_add_f16_e32 v117, v39, v40
	v_sub_f16_e32 v126, v25, v31
	v_mul_f16_e32 v129, 0xb1e1, v127
	v_add_f16_e32 v118, v33, v37
	v_mul_f16_e32 v130, 0x35c8, v125
	v_sub_f16_e32 v123, v17, v19
	v_mul_f16_e32 v131, 0xb836, v126
	v_fmamk_f16 v141, v119, 0xbbdd, v129
	v_fma_f16 v129, v119, 0xbbdd, -v129
	v_fmamk_f16 v142, v117, 0x3b76, v130
	v_add_f16_e32 v115, v29, v30
	v_mul_f16_e32 v132, 0x3964, v123
	v_add_f16_e32 v141, v47, v141
	v_mul_f16_e32 v137, 0xb836, v127
	v_fmamk_f16 v143, v118, 0xbacd, v131
	v_fma_f16 v130, v117, 0x3b76, -v130
	v_add_f16_e32 v129, v47, v129
	v_add_f16_e32 v141, v142, v141
	v_sub_f16_e32 v124, v13, v15
	v_mul_f16_e32 v138, 0x3b29, v125
	v_fmamk_f16 v144, v115, 0x39e9, v132
	v_fma_f16 v131, v118, 0xbacd, -v131
	v_add_f16_e32 v141, v143, v141
	v_fmamk_f16 v142, v119, 0xbacd, v137
	v_add_f16_e32 v129, v130, v129
	v_add_f16_e32 v111, v47, v41
	v_add_f16_e32 v116, v18, v24
	v_sub_f16_e32 v121, v9, v10
	v_mul_f16_e32 v133, 0xba62, v124
	v_mul_f16_e32 v139, 0xbbf7, v126
	v_fma_f16 v132, v115, 0x39e9, -v132
	v_add_f16_e32 v130, v144, v141
	v_fmamk_f16 v141, v117, 0x3722, v138
	v_add_f16_e32 v142, v47, v142
	v_add_f16_e32 v129, v131, v129
	v_add_f16_e32 v111, v111, v39
	v_add_f16_e32 v113, v14, v16
	v_sub_f16_e32 v122, v5, v6
	v_mul_f16_e32 v134, 0x3b29, v121
	v_mul_f16_e32 v140, 0x3a62, v123
	v_fmamk_f16 v145, v116, 0xb8d2, v133
	v_fma_f16 v133, v116, 0xb8d2, -v133
	v_fmamk_f16 v131, v118, 0x2de8, v139
	v_add_f16_e32 v141, v141, v142
	v_add_f16_e32 v129, v132, v129
	;; [unrolled: 1-line block ×4, first 2 shown]
	v_sub_f16_e32 v120, v3, v4
	v_mul_f16_e32 v135, 0xbbb2, v122
	v_fmamk_f16 v146, v113, 0x3722, v134
	v_fma_f16 v134, v113, 0x3722, -v134
	v_add_f16_e32 v130, v145, v130
	v_fmamk_f16 v132, v115, 0xb8d2, v140
	v_add_f16_e32 v131, v131, v141
	v_add_f16_e32 v129, v133, v129
	v_mul_f16_e32 v133, 0xb5c8, v124
	v_add_f16_e32 v128, v111, v29
	v_add_f16_e32 v111, v7, v8
	v_mul_f16_e32 v136, 0x3bf7, v120
	v_fmamk_f16 v147, v114, 0xb461, v135
	v_add_f16_e32 v130, v146, v130
	v_add_f16_e32 v129, v134, v129
	v_fma_f16 v134, v114, 0xb461, -v135
	v_add_f16_e32 v131, v132, v131
	v_fmamk_f16 v132, v116, 0x3b76, v133
	v_mul_f16_e32 v135, 0xb1e1, v121
	v_add_f16_e32 v130, v147, v130
	v_fmamk_f16 v141, v111, 0x2de8, v136
	v_fma_f16 v137, v119, 0xbacd, -v137
	v_add_f16_e32 v129, v134, v129
	v_add_f16_e32 v131, v132, v131
	v_fmamk_f16 v132, v113, 0xbbdd, v135
	v_mul_f16_e32 v134, 0x3964, v122
	v_add_f16_e32 v130, v141, v130
	v_add_f16_e32 v137, v47, v137
	v_fma_f16 v138, v117, 0x3722, -v138
	v_fma_f16 v136, v111, 0x2de8, -v136
	v_add_f16_e32 v131, v132, v131
	v_fmamk_f16 v132, v114, 0x39e9, v134
	v_mul_f16_e32 v141, 0xba62, v127
	v_add_f16_e32 v137, v138, v137
	v_fma_f16 v138, v118, 0x2de8, -v139
	v_add_f16_e32 v129, v136, v129
	v_add_f16_e32 v131, v132, v131
	v_fmamk_f16 v132, v119, 0xb8d2, v141
	v_mul_f16_e32 v136, 0x3bb2, v125
	v_add_f16_e32 v137, v138, v137
	v_fma_f16 v138, v115, 0xb8d2, -v140
	v_mul_f16_e32 v139, 0xbbb2, v120
	v_add_f16_e32 v132, v47, v132
	v_fmamk_f16 v140, v117, 0xb461, v136
	v_mul_f16_e32 v142, 0xb5c8, v126
	v_add_f16_e32 v137, v138, v137
	v_fma_f16 v133, v116, 0x3b76, -v133
	v_fmamk_f16 v138, v111, 0xb461, v139
	v_add_f16_e32 v132, v140, v132
	v_fmamk_f16 v140, v118, 0x3b76, v142
	v_mul_f16_e32 v143, 0xb836, v123
	v_add_f16_e32 v133, v133, v137
	v_fma_f16 v135, v113, 0xbbdd, -v135
	v_add_f16_e32 v131, v138, v131
	v_add_f16_e32 v132, v140, v132
	v_fmamk_f16 v137, v115, 0xbacd, v143
	v_mul_f16_e32 v138, 0x3bf7, v124
	v_add_f16_e32 v133, v135, v133
	v_fma_f16 v135, v119, 0xb8d2, -v141
	v_fma_f16 v134, v114, 0x39e9, -v134
	v_add_f16_e32 v132, v137, v132
	v_fmamk_f16 v137, v116, 0x2de8, v138
	v_mul_f16_e32 v140, 0xb964, v121
	v_add_f16_e32 v135, v47, v135
	v_fma_f16 v136, v117, 0xb461, -v136
	v_add_f16_e32 v133, v134, v133
	v_add_f16_e32 v132, v137, v132
	v_fmamk_f16 v134, v113, 0x39e9, v140
	v_mul_f16_e32 v137, 0xb1e1, v122
	v_add_f16_e32 v135, v136, v135
	v_fma_f16 v136, v118, 0x3b76, -v142
	v_fma_f16 v139, v111, 0xb461, -v139
	v_add_f16_e32 v132, v134, v132
	v_fmamk_f16 v134, v114, 0xbbdd, v137
	v_mul_f16_e32 v141, 0xbbb2, v127
	v_add_f16_e32 v135, v136, v135
	v_fma_f16 v136, v115, 0xbacd, -v143
	v_add_f16_e32 v133, v139, v133
	v_add_f16_e32 v132, v134, v132
	v_fmamk_f16 v134, v119, 0xb461, v141
	v_mul_f16_e32 v139, 0x3836, v125
	v_add_f16_e32 v135, v136, v135
	v_fma_f16 v136, v116, 0x2de8, -v138
	v_mul_f16_e32 v138, 0x3b29, v120
	v_add_f16_e32 v134, v47, v134
	v_fmamk_f16 v142, v117, 0xbacd, v139
	v_mul_f16_e32 v143, 0x3964, v126
	v_add_f16_e32 v135, v136, v135
	v_fma_f16 v136, v113, 0x39e9, -v140
	v_fmamk_f16 v140, v111, 0x3722, v138
	v_add_f16_e32 v134, v142, v134
	v_fmamk_f16 v142, v118, 0x39e9, v143
	v_mul_f16_e32 v144, 0xbb29, v123
	v_add_f16_e32 v135, v136, v135
	v_fma_f16 v136, v114, 0xbbdd, -v137
	v_add_f16_e32 v132, v140, v132
	v_add_f16_e32 v134, v142, v134
	v_fmamk_f16 v137, v115, 0x3722, v144
	v_mul_f16_e32 v140, 0xb1e1, v124
	v_add_f16_e32 v135, v136, v135
	v_fma_f16 v136, v111, 0x3722, -v138
	v_fma_f16 v138, v119, 0xb461, -v141
	v_add_f16_e32 v134, v137, v134
	v_fmamk_f16 v137, v116, 0xbbdd, v140
	v_mul_f16_e32 v141, 0x3bf7, v121
	v_add_f16_e32 v135, v136, v135
	v_add_f16_e32 v136, v47, v138
	v_fma_f16 v138, v117, 0xbacd, -v139
	v_add_f16_e32 v134, v137, v134
	v_fmamk_f16 v137, v113, 0x2de8, v141
	v_mul_f16_e32 v139, 0xbbf7, v127
	v_mul_f16_e32 v146, 0x3bb2, v126
	v_add_f16_e32 v136, v138, v136
	v_fma_f16 v138, v118, 0x39e9, -v143
	v_add_f16_e32 v134, v137, v134
	v_fmamk_f16 v137, v119, 0x2de8, v139
	v_mul_f16_e32 v143, 0xb1e1, v125
	v_mul_f16_e32 v142, 0xb5c8, v122
	v_add_f16_e32 v136, v138, v136
	v_fma_f16 v138, v115, 0x3722, -v144
	v_add_f16_e32 v137, v47, v137
	v_fmamk_f16 v144, v117, 0xbbdd, v143
	v_fmamk_f16 v145, v114, 0x3b76, v142
	v_fma_f16 v139, v119, 0x2de8, -v139
	v_add_f16_e32 v136, v138, v136
	v_fma_f16 v138, v116, 0xbbdd, -v140
	v_add_f16_e32 v137, v144, v137
	v_fmamk_f16 v140, v118, 0xb461, v146
	v_mul_f16_e32 v144, 0x35c8, v123
	v_add_f16_e32 v134, v145, v134
	v_add_f16_e32 v136, v138, v136
	v_fma_f16 v138, v113, 0x2de8, -v141
	v_add_f16_e32 v137, v140, v137
	v_fmamk_f16 v140, v115, 0x3b76, v144
	v_mul_f16_e32 v141, 0xbb29, v124
	v_mul_f16_e32 v145, 0xba62, v120
	v_add_f16_e32 v136, v138, v136
	v_fma_f16 v138, v114, 0x3b76, -v142
	v_add_f16_e32 v137, v140, v137
	v_fmamk_f16 v140, v116, 0x3722, v141
	v_mul_f16_e32 v142, 0xb836, v121
	v_fmamk_f16 v147, v111, 0xb8d2, v145
	v_add_f16_e32 v136, v138, v136
	v_add_f16_e32 v139, v47, v139
	v_add_f16_e32 v137, v140, v137
	v_fmamk_f16 v138, v113, 0xbacd, v142
	v_mul_f16_e32 v140, 0x3a62, v122
	v_add_f16_e32 v134, v147, v134
	v_fma_f16 v143, v117, 0xbbdd, -v143
	v_fma_f16 v145, v111, 0xb8d2, -v145
	v_add_f16_e32 v137, v138, v137
	v_fmamk_f16 v138, v114, 0xb8d2, v140
	v_mul_f16_e32 v147, 0xbb29, v127
	v_add_f16_e32 v139, v143, v139
	v_fma_f16 v143, v118, 0xb461, -v146
	v_add_f16_e32 v136, v145, v136
	v_add_f16_e32 v137, v138, v137
	v_fmamk_f16 v138, v119, 0x3722, v147
	v_mul_f16_e32 v145, 0xba62, v125
	v_add_f16_e32 v139, v143, v139
	v_fma_f16 v143, v115, 0x3b76, -v144
	v_mul_f16_e32 v144, 0x3964, v120
	v_add_f16_e32 v138, v47, v138
	v_fmamk_f16 v146, v117, 0xb8d2, v145
	v_mul_f16_e32 v148, 0x31e1, v126
	v_add_f16_e32 v139, v143, v139
	v_fma_f16 v141, v116, 0x3722, -v141
	v_fmamk_f16 v143, v111, 0x39e9, v144
	v_add_f16_e32 v138, v146, v138
	v_fmamk_f16 v146, v118, 0xbbdd, v148
	v_mul_f16_e32 v149, 0x3bb2, v123
	v_add_f16_e32 v139, v141, v139
	v_fma_f16 v141, v113, 0xbacd, -v142
	v_add_f16_e32 v137, v143, v137
	v_add_f16_e32 v138, v146, v138
	v_fmamk_f16 v142, v115, 0xb461, v149
	v_mul_f16_e32 v143, 0x3964, v124
	v_add_f16_e32 v139, v141, v139
	v_fma_f16 v141, v119, 0x3722, -v147
	v_fma_f16 v140, v114, 0xb8d2, -v140
	v_add_f16_e32 v138, v142, v138
	v_fmamk_f16 v142, v116, 0x39e9, v143
	v_mul_f16_e32 v146, 0xb5c8, v121
	v_add_f16_e32 v141, v47, v141
	v_fma_f16 v145, v117, 0xb8d2, -v145
	v_add_f16_e32 v139, v140, v139
	v_add_f16_e32 v138, v142, v138
	v_fmamk_f16 v140, v113, 0x3b76, v146
	v_mul_f16_e32 v142, 0xbbf7, v122
	v_add_f16_e32 v141, v145, v141
	v_fma_f16 v145, v118, 0xbbdd, -v148
	v_fma_f16 v144, v111, 0x39e9, -v144
	v_add_f16_e32 v138, v140, v138
	v_mul_f16_e32 v140, 0xb964, v127
	v_fmamk_f16 v147, v114, 0x2de8, v142
	v_add_f16_e32 v141, v145, v141
	v_fma_f16 v145, v115, 0xb461, -v149
	v_add_f16_e32 v139, v144, v139
	v_fmamk_f16 v144, v119, 0x39e9, v140
	v_mul_f16_e32 v148, 0xbbf7, v125
	v_add_f16_e32 v138, v147, v138
	v_add_f16_e32 v141, v145, v141
	v_fma_f16 v143, v116, 0x39e9, -v143
	v_add_f16_e32 v144, v47, v144
	v_fmamk_f16 v145, v117, 0x2de8, v148
	v_mul_f16_e32 v147, 0xba62, v126
	v_mul_f16_e32 v149, 0xb836, v120
	v_add_f16_e32 v141, v143, v141
	v_fma_f16 v143, v113, 0x3b76, -v146
	v_add_f16_e32 v144, v145, v144
	v_fmamk_f16 v145, v118, 0xb8d2, v147
	v_mul_f16_e32 v146, 0xb1e1, v123
	v_fma_f16 v142, v114, 0x2de8, -v142
	v_add_f16_e32 v141, v143, v141
	v_add_f16_e32 v128, v128, v18
	;; [unrolled: 1-line block ×3, first 2 shown]
	v_fmamk_f16 v144, v115, 0xbbdd, v146
	v_mul_f16_e32 v145, 0x3836, v124
	v_fmamk_f16 v150, v111, 0xbacd, v149
	v_add_f16_e32 v141, v142, v141
	v_add_f16_e32 v128, v128, v14
	;; [unrolled: 1-line block ×3, first 2 shown]
	v_fmamk_f16 v143, v116, 0xbacd, v145
	v_mul_f16_e32 v144, 0x3bb2, v121
	v_add_f16_e32 v138, v150, v138
	v_mul_f16_e32 v150, 0x3b29, v122
	v_add_f16_e32 v128, v128, v11
	v_add_f16_e32 v142, v143, v142
	v_fmamk_f16 v143, v113, 0xb461, v144
	v_mul_f16_e32 v127, 0xb5c8, v127
	v_mul_f16_e32 v125, 0xb964, v125
	v_add_f16_e32 v128, v128, v7
	v_fma_f16 v140, v119, 0x39e9, -v140
	v_add_f16_e32 v142, v143, v142
	v_fmamk_f16 v143, v114, 0x3722, v150
	v_mul_f16_e32 v126, 0xbb29, v126
	v_add_f16_e32 v128, v128, v8
	v_add_f16_e32 v140, v47, v140
	v_fma_f16 v148, v117, 0x2de8, -v148
	v_add_f16_e32 v142, v143, v142
	v_fma_f16 v143, v119, 0x3b76, -v127
	v_fmamk_f16 v119, v119, 0x3b76, v127
	v_add_f16_e32 v128, v128, v12
	v_mul_f16_e32 v123, 0xbbf7, v123
	v_add_f16_e32 v140, v148, v140
	v_add_f16_e32 v127, v47, v143
	v_fma_f16 v143, v117, 0x39e9, -v125
	v_add_f16_e32 v47, v47, v119
	v_fmamk_f16 v117, v117, 0x39e9, v125
	v_fma_f16 v125, v118, 0x3722, -v126
	v_fma_f16 v147, v118, 0xb8d2, -v147
	v_add_f16_e32 v119, v143, v127
	v_add_f16_e32 v128, v128, v16
	;; [unrolled: 1-line block ×3, first 2 shown]
	v_fmamk_f16 v117, v118, 0x3722, v126
	v_mul_f16_e32 v124, 0xbbb2, v124
	v_add_f16_e32 v118, v125, v119
	v_fma_f16 v119, v115, 0x2de8, -v123
	v_add_f16_e32 v140, v147, v140
	v_fma_f16 v146, v115, 0xbbdd, -v146
	v_add_f16_e32 v128, v128, v24
	v_add_f16_e32 v47, v117, v47
	v_fmamk_f16 v115, v115, 0x2de8, v123
	v_add_f16_e32 v117, v119, v118
	v_fma_f16 v118, v116, 0xb461, -v124
	v_mul_f16_e32 v119, 0xba62, v121
	v_add_f16_e32 v140, v146, v140
	v_fma_f16 v145, v116, 0xbacd, -v145
	v_add_f16_e32 v128, v128, v30
	v_add_f16_e32 v47, v115, v47
	v_fmamk_f16 v115, v116, 0xb461, v124
	v_add_f16_e32 v116, v118, v117
	v_fma_f16 v117, v113, 0xb8d2, -v119
	v_mul_f16_e32 v118, 0xb836, v122
	;; [unrolled: 8-line block ×3, first 2 shown]
	v_mul_f16_e32 v148, 0x35c8, v120
	v_add_f16_e32 v121, v125, v127
	v_fma_f16 v122, v114, 0x3722, -v150
	v_add_f16_e32 v128, v128, v40
	v_add_f16_e32 v47, v113, v47
	v_fmamk_f16 v113, v114, 0xbacd, v118
	v_lshlrev_b32_sdwa v112, v112, v2 dst_sel:DWORD dst_unused:UNUSED_PAD src0_sel:DWORD src1_sel:BYTE_0
	v_add_f16_e32 v114, v116, v115
	v_fma_f16 v115, v111, 0xbbdd, -v119
	v_add_f16_e32 v117, v122, v121
	v_fma_f16 v116, v111, 0x3b76, -v148
	v_fma_f16 v149, v111, 0xbacd, -v149
	v_add_f16_e32 v128, v128, v42
	v_fmamk_f16 v147, v111, 0x3b76, v148
	v_add_f16_e32 v47, v113, v47
	v_fmamk_f16 v111, v111, 0xbbdd, v119
	v_add3_u32 v112, 0, v112, v0
	v_add_f16_e32 v113, v115, v114
	v_add_f16_e32 v114, v116, v117
	;; [unrolled: 1-line block ×5, first 2 shown]
	ds_write_b16 v112, v128 offset:952
	ds_write_b16 v112, v113 offset:966
	;; [unrolled: 1-line block ×17, first 2 shown]
.LBB0_16:
	s_or_b32 exec_lo, exec_lo, s1
	v_add_f16_e32 v47, v64, v106
	v_sub_f16_e32 v109, v109, v110
	v_add_f16_e32 v106, v106, v103
	v_add_f16_e32 v110, v105, v104
	v_sub_f16_e32 v107, v107, v108
	v_add_f16_e32 v47, v47, v105
	v_mul_f16_e32 v105, 0xb5c8, v109
	v_mul_f16_e32 v108, 0xb964, v109
	;; [unrolled: 1-line block ×4, first 2 shown]
	v_add_f16_e32 v47, v47, v99
	v_mul_f16_e32 v113, 0xbbb2, v109
	v_mul_f16_e32 v114, 0xba62, v109
	;; [unrolled: 1-line block ×4, first 2 shown]
	v_add_f16_e32 v47, v47, v94
	v_mul_f16_e32 v116, 0xb964, v107
	v_mul_f16_e32 v117, 0xbbf7, v107
	v_fmamk_f16 v121, v106, 0x3b76, v105
	v_fma_f16 v105, v106, 0x3b76, -v105
	v_add_f16_e32 v47, v47, v89
	v_fmamk_f16 v122, v106, 0x39e9, v108
	v_fma_f16 v108, v106, 0x39e9, -v108
	v_mul_f16_e32 v119, 0xb1e1, v107
	v_mul_f16_e32 v120, 0x3836, v107
	v_add_f16_e32 v47, v47, v85
	v_fmamk_f16 v123, v106, 0x3722, v111
	v_fma_f16 v111, v106, 0x3722, -v111
	v_fmamk_f16 v124, v106, 0x2de8, v112
	v_fma_f16 v112, v106, 0x2de8, -v112
	v_add_f16_e32 v47, v47, v80
	v_fmamk_f16 v125, v106, 0xb461, v113
	v_fma_f16 v113, v106, 0xb461, -v113
	v_fmamk_f16 v126, v106, 0xb8d2, v114
	v_fma_f16 v114, v106, 0xb8d2, -v114
	;; [unrolled: 5-line block ×4, first 2 shown]
	v_add_f16_e32 v47, v47, v81
	v_add_f16_e32 v105, v64, v105
	;; [unrolled: 1-line block ×6, first 2 shown]
	v_mul_f16_e32 v118, 0xba62, v107
	v_add_f16_e32 v108, v117, v108
	v_mul_f16_e32 v117, 0x3bb2, v107
	v_add_f16_e32 v114, v64, v114
	v_add_f16_e32 v47, v47, v90
	v_sub_f16_e32 v101, v101, v102
	v_fmamk_f16 v130, v110, 0xb8d2, v118
	v_fma_f16 v118, v110, 0xb8d2, -v118
	v_add_f16_e32 v121, v64, v121
	v_add_f16_e32 v47, v47, v95
	;; [unrolled: 1-line block ×13, first 2 shown]
	v_fma_f16 v116, v110, 0xbbdd, -v119
	v_add_f16_e32 v128, v64, v128
	v_add_f16_e32 v64, v64, v106
	v_add_f16_e32 v103, v47, v103
	v_fmamk_f16 v47, v110, 0xbbdd, v119
	v_fma_f16 v119, v110, 0xbacd, -v120
	v_add_f16_e32 v112, v116, v112
	v_fmamk_f16 v116, v110, 0xb461, v117
	v_fma_f16 v117, v110, 0xb461, -v117
	v_add_f16_e32 v99, v99, v100
	v_add_f16_e32 v113, v119, v113
	v_mul_f16_e32 v119, 0x3b29, v107
	v_mul_f16_e32 v107, 0x35c8, v107
	v_add_f16_e32 v114, v117, v114
	v_mul_f16_e32 v100, 0xbb29, v101
	v_add_f16_e32 v106, v109, v121
	v_fmamk_f16 v102, v110, 0x3722, v119
	v_fma_f16 v117, v110, 0x3722, -v119
	v_fmamk_f16 v119, v110, 0x3b76, v107
	v_fma_f16 v107, v110, 0x3b76, -v107
	v_add_f16_e32 v111, v118, v111
	v_fmamk_f16 v118, v110, 0xbacd, v120
	v_add_f16_e32 v110, v117, v115
	v_add_f16_e32 v115, v119, v128
	v_fmamk_f16 v117, v99, 0x3722, v100
	v_mul_f16_e32 v119, 0xba62, v101
	v_add_f16_e32 v64, v107, v64
	v_fma_f16 v100, v99, 0x3722, -v100
	v_mul_f16_e32 v107, 0x31e1, v101
	v_add_f16_e32 v106, v117, v106
	v_fmamk_f16 v117, v99, 0xb8d2, v119
	v_fma_f16 v119, v99, 0xb8d2, -v119
	v_add_f16_e32 v100, v100, v104
	v_fmamk_f16 v104, v99, 0xbbdd, v107
	v_mul_f16_e32 v120, 0x3bb2, v101
	v_fma_f16 v107, v99, 0xbbdd, -v107
	v_add_f16_e32 v105, v129, v122
	v_add_f16_e32 v109, v130, v123
	;; [unrolled: 1-line block ×3, first 2 shown]
	v_fma_f16 v119, v99, 0xb461, -v120
	v_add_f16_e32 v107, v107, v111
	v_mul_f16_e32 v111, 0xb5c8, v101
	v_add_f16_e32 v47, v47, v124
	v_add_f16_e32 v105, v117, v105
	;; [unrolled: 1-line block ×3, first 2 shown]
	v_fmamk_f16 v109, v99, 0xb461, v120
	v_mul_f16_e32 v117, 0x3964, v101
	v_add_f16_e32 v112, v119, v112
	v_fmamk_f16 v119, v99, 0x3b76, v111
	v_mul_f16_e32 v120, 0xbbf7, v101
	v_fma_f16 v111, v99, 0x3b76, -v111
	v_mul_f16_e32 v101, 0xb836, v101
	v_sub_f16_e32 v97, v97, v98
	v_add_f16_e32 v47, v109, v47
	v_fmamk_f16 v109, v99, 0x39e9, v117
	v_fma_f16 v117, v99, 0x39e9, -v117
	v_add_f16_e32 v111, v111, v114
	v_fma_f16 v98, v99, 0x2de8, -v120
	v_fmamk_f16 v114, v99, 0xbacd, v101
	v_add_f16_e32 v94, v94, v95
	v_mul_f16_e32 v95, 0xbbf7, v97
	v_add_f16_e32 v113, v117, v113
	v_fmamk_f16 v117, v99, 0x2de8, v120
	v_add_f16_e32 v98, v98, v110
	v_fma_f16 v99, v99, 0xbacd, -v101
	v_add_f16_e32 v101, v114, v115
	v_mul_f16_e32 v110, 0xb1e1, v97
	v_fmamk_f16 v114, v94, 0x2de8, v95
	v_fma_f16 v95, v94, 0x2de8, -v95
	v_add_f16_e32 v64, v99, v64
	v_mul_f16_e32 v99, 0x3bb2, v97
	v_fmamk_f16 v115, v94, 0xbbdd, v110
	v_add_f16_e32 v106, v114, v106
	v_add_f16_e32 v95, v95, v100
	v_fma_f16 v100, v94, 0xbbdd, -v110
	v_fmamk_f16 v110, v94, 0xb461, v99
	v_mul_f16_e32 v114, 0x35c8, v97
	v_fma_f16 v99, v94, 0xb461, -v99
	v_add_f16_e32 v105, v115, v105
	v_add_f16_e32 v100, v100, v108
	v_mul_f16_e32 v108, 0xbb29, v97
	v_add_f16_e32 v104, v110, v104
	v_fmamk_f16 v110, v94, 0x3b76, v114
	v_add_f16_e32 v99, v99, v107
	v_fma_f16 v107, v94, 0x3b76, -v114
	v_mul_f16_e32 v114, 0xb836, v97
	v_fmamk_f16 v115, v94, 0x3722, v108
	v_fma_f16 v108, v94, 0x3722, -v108
	v_add_f16_e32 v102, v102, v127
	v_add_f16_e32 v107, v107, v112
	v_fma_f16 v112, v94, 0xbacd, -v114
	v_sub_f16_e32 v92, v92, v93
	v_add_f16_e32 v108, v108, v113
	v_mul_f16_e32 v113, 0x3a62, v97
	v_mul_f16_e32 v97, 0x3964, v97
	v_add_f16_e32 v102, v117, v102
	v_add_f16_e32 v47, v110, v47
	v_fmamk_f16 v110, v94, 0xbacd, v114
	v_add_f16_e32 v111, v112, v111
	v_fmamk_f16 v93, v94, 0xb8d2, v113
	v_fma_f16 v112, v94, 0xb8d2, -v113
	v_fmamk_f16 v113, v94, 0x39e9, v97
	v_add_f16_e32 v89, v89, v90
	v_mul_f16_e32 v90, 0xbbb2, v92
	v_fma_f16 v94, v94, 0x39e9, -v97
	v_add_f16_e32 v93, v93, v102
	v_add_f16_e32 v97, v113, v101
	v_mul_f16_e32 v102, 0x3836, v92
	v_fmamk_f16 v101, v89, 0xb461, v90
	v_fma_f16 v90, v89, 0xb461, -v90
	v_add_f16_e32 v64, v94, v64
	v_mul_f16_e32 v94, 0x3964, v92
	v_add_f16_e32 v98, v112, v98
	v_add_f16_e32 v101, v101, v106
	v_fmamk_f16 v106, v89, 0xbacd, v102
	v_add_f16_e32 v90, v90, v95
	v_fma_f16 v95, v89, 0xbacd, -v102
	v_fmamk_f16 v102, v89, 0x39e9, v94
	v_mul_f16_e32 v112, 0xbb29, v92
	v_add_f16_e32 v118, v118, v125
	v_fma_f16 v94, v89, 0x39e9, -v94
	v_add_f16_e32 v95, v95, v100
	v_add_f16_e32 v100, v102, v104
	v_fmamk_f16 v102, v89, 0x3722, v112
	v_mul_f16_e32 v104, 0xb1e1, v92
	v_add_f16_e32 v109, v109, v118
	v_sub_f16_e32 v87, v87, v88
	v_add_f16_e32 v105, v106, v105
	v_add_f16_e32 v47, v102, v47
	v_fmamk_f16 v102, v89, 0xbbdd, v104
	v_fma_f16 v104, v89, 0xbbdd, -v104
	v_add_f16_e32 v109, v115, v109
	v_add_f16_e32 v94, v94, v99
	v_fma_f16 v99, v89, 0x3722, -v112
	v_mul_f16_e32 v106, 0x3bf7, v92
	v_add_f16_e32 v104, v104, v108
	v_mul_f16_e32 v108, 0xb5c8, v92
	v_mul_f16_e32 v88, 0xba62, v92
	v_add_f16_e32 v85, v85, v86
	v_mul_f16_e32 v86, 0xba62, v87
	v_add_f16_e32 v99, v99, v107
	v_fmamk_f16 v92, v89, 0x3b76, v108
	v_fma_f16 v108, v89, 0x3b76, -v108
	v_fmamk_f16 v107, v89, 0x2de8, v106
	v_fma_f16 v106, v89, 0x2de8, -v106
	v_add_f16_e32 v102, v102, v109
	v_fmamk_f16 v109, v89, 0xb8d2, v88
	v_add_f16_e32 v92, v92, v93
	v_fma_f16 v88, v89, 0xb8d2, -v88
	v_add_f16_e32 v89, v108, v98
	v_fmamk_f16 v93, v85, 0xb8d2, v86
	v_mul_f16_e32 v98, 0x3bb2, v87
	v_fma_f16 v86, v85, 0xb8d2, -v86
	v_add_f16_e32 v64, v88, v64
	v_sub_f16_e32 v83, v83, v84
	v_add_f16_e32 v88, v93, v101
	v_fmamk_f16 v101, v85, 0xb461, v98
	v_fma_f16 v98, v85, 0xb461, -v98
	v_add_f16_e32 v86, v86, v90
	v_mul_f16_e32 v90, 0xb836, v87
	v_mul_f16_e32 v93, 0xb5c8, v87
	v_add_f16_e32 v101, v101, v105
	v_add_f16_e32 v95, v98, v95
	v_mul_f16_e32 v105, 0x3bf7, v87
	v_fmamk_f16 v98, v85, 0xbacd, v90
	v_fma_f16 v90, v85, 0xbacd, -v90
	v_fmamk_f16 v108, v85, 0x3b76, v93
	v_fma_f16 v93, v85, 0x3b76, -v93
	v_mul_f16_e32 v84, 0x3b29, v87
	v_add_f16_e32 v47, v98, v47
	v_add_f16_e32 v90, v90, v99
	v_fmamk_f16 v98, v85, 0x2de8, v105
	v_fma_f16 v99, v85, 0x2de8, -v105
	v_mul_f16_e32 v105, 0xb1e1, v87
	v_add_f16_e32 v93, v93, v94
	v_mul_f16_e32 v94, 0xb964, v87
	v_add_f16_e32 v98, v98, v102
	v_add_f16_e32 v80, v80, v81
	v_fmamk_f16 v102, v85, 0xbbdd, v105
	v_mul_f16_e32 v81, 0xb836, v83
	v_add_f16_e32 v116, v116, v126
	v_add_f16_e32 v100, v108, v100
	v_fmamk_f16 v108, v85, 0x39e9, v94
	v_add_f16_e32 v87, v102, v92
	v_fma_f16 v92, v85, 0xbbdd, -v105
	v_fma_f16 v94, v85, 0x39e9, -v94
	v_fmamk_f16 v102, v85, 0x3722, v84
	v_fma_f16 v84, v85, 0x3722, -v84
	v_add_f16_e32 v116, v119, v116
	v_add_f16_e32 v85, v92, v89
	v_mul_f16_e32 v89, 0x3b29, v83
	v_fmamk_f16 v92, v80, 0xbacd, v81
	v_add_f16_e32 v64, v84, v64
	v_fma_f16 v81, v80, 0xbacd, -v81
	v_add_f16_e32 v110, v110, v116
	v_fmamk_f16 v84, v80, 0x3722, v89
	v_add_f16_e32 v88, v92, v88
	v_mul_f16_e32 v92, 0xbbf7, v83
	v_fma_f16 v89, v80, 0x3722, -v89
	v_add_f16_e32 v97, v109, v97
	v_add_f16_e32 v86, v81, v86
	;; [unrolled: 1-line block ×3, first 2 shown]
	v_mul_f16_e32 v81, 0x3a62, v83
	v_fmamk_f16 v101, v80, 0x2de8, v92
	v_add_f16_e32 v89, v89, v95
	v_mul_f16_e32 v95, 0xb5c8, v83
	v_fma_f16 v92, v80, 0x2de8, -v92
	v_add_f16_e32 v107, v107, v110
	v_add_f16_e32 v97, v102, v97
	v_fmamk_f16 v102, v80, 0xb8d2, v81
	v_add_f16_e32 v100, v101, v100
	v_fmamk_f16 v101, v80, 0x3b76, v95
	v_add_f16_e32 v92, v92, v93
	v_mul_f16_e32 v93, 0xb1e1, v83
	v_add_f16_e32 v99, v99, v104
	v_add_f16_e32 v104, v108, v107
	;; [unrolled: 1-line block ×4, first 2 shown]
	v_fma_f16 v95, v80, 0x3b76, -v95
	v_fmamk_f16 v101, v80, 0xbbdd, v93
	v_add_f16_e32 v102, v32, v71
	v_fma_f16 v81, v80, 0xb8d2, -v81
	v_add_f16_e32 v106, v106, v111
	v_add_f16_e32 v95, v95, v99
	;; [unrolled: 1-line block ×5, first 2 shown]
	v_mul_f16_e32 v81, 0x3964, v83
	v_sub_f16_e32 v76, v76, v77
	v_mul_f16_e32 v77, 0xbbb2, v83
	v_add_f16_e32 v83, v101, v61
	v_add_f16_e32 v94, v94, v106
	v_fma_f16 v93, v80, 0xbbdd, -v93
	v_fmamk_f16 v105, v80, 0x39e9, v81
	v_add_f16_e32 v70, v70, v72
	v_mul_f16_e32 v72, 0xb1e1, v76
	v_add_f16_e32 v83, v83, v58
	v_add_f16_e32 v93, v93, v94
	;; [unrolled: 1-line block ×3, first 2 shown]
	v_fma_f16 v81, v80, 0x39e9, -v81
	v_fmamk_f16 v87, v80, 0xb461, v77
	v_fma_f16 v77, v80, 0xb461, -v77
	v_fmamk_f16 v80, v70, 0xbbdd, v72
	v_add_f16_e32 v83, v83, v54
	v_add_f16_e32 v101, v81, v85
	v_fma_f16 v72, v70, 0xbbdd, -v72
	v_add_f16_e32 v64, v77, v64
	v_mul_f16_e32 v77, 0x35c8, v76
	v_add_f16_e32 v81, v80, v88
	v_add_f16_e32 v80, v83, v50
	;; [unrolled: 1-line block ×3, first 2 shown]
	v_mul_f16_e32 v83, 0xb836, v76
	v_fmamk_f16 v85, v70, 0x3b76, v77
	v_fma_f16 v87, v70, 0x3b76, -v77
	v_add_f16_e32 v77, v72, v86
	v_add_f16_e32 v72, v80, v45
	v_fmamk_f16 v86, v70, 0xbacd, v83
	v_add_f16_e32 v84, v85, v84
	v_add_f16_e32 v80, v87, v89
	v_mul_f16_e32 v87, 0x3964, v76
	v_add_f16_e32 v72, v72, v43
	v_add_f16_e32 v85, v86, v100
	v_fma_f16 v83, v70, 0xbacd, -v83
	v_mul_f16_e32 v88, 0xba62, v76
	v_fmamk_f16 v86, v70, 0x39e9, v87
	v_add_f16_e32 v72, v72, v44
	v_fma_f16 v89, v70, 0x39e9, -v87
	v_add_f16_e32 v83, v83, v92
	v_fmamk_f16 v92, v70, 0xb8d2, v88
	v_add_f16_e32 v87, v86, v47
	v_add_f16_e32 v47, v72, v46
	v_mul_f16_e32 v72, 0x3b29, v76
	v_add_f16_e32 v86, v89, v90
	v_add_f16_e32 v89, v92, v98
	v_fma_f16 v88, v70, 0xb8d2, -v88
	v_add_f16_e32 v47, v47, v51
	v_mul_f16_e32 v98, 0xbbb2, v76
	v_fmamk_f16 v90, v70, 0x3722, v72
	v_fma_f16 v72, v70, 0x3722, -v72
	v_add_f16_e32 v88, v88, v95
	v_add_f16_e32 v47, v47, v55
	v_fmamk_f16 v95, v70, 0xb461, v98
	v_add_f16_e32 v92, v90, v99
	v_add_f16_e32 v90, v72, v93
	v_mul_f16_e32 v72, 0x3bf7, v76
	v_add_f16_e32 v47, v47, v59
	v_fma_f16 v76, v70, 0xb461, -v98
	v_sub_f16_e32 v98, v78, v82
	v_add_f16_e32 v71, v71, v75
	v_fmamk_f16 v82, v70, 0x2de8, v72
	v_add_f16_e32 v47, v47, v65
	v_fma_f16 v70, v70, 0x2de8, -v72
	v_mul_f16_e32 v72, 0xb5c8, v98
	v_mul_f16_e32 v105, 0xb836, v98
	v_add_f16_e32 v93, v95, v94
	v_add_f16_e32 v47, v47, v69
	;; [unrolled: 1-line block ×5, first 2 shown]
	v_fmamk_f16 v64, v71, 0x3b76, v72
	v_mul_f16_e32 v70, 0xb964, v98
	v_add_f16_e32 v82, v47, v75
	v_fma_f16 v47, v71, 0x3b76, -v72
	v_mul_f16_e32 v72, 0xbb29, v98
	v_mul_f16_e32 v97, 0xbbf7, v98
	;; [unrolled: 1-line block ×4, first 2 shown]
	v_fmamk_f16 v106, v71, 0xbacd, v105
	v_mul_f16_e32 v98, 0xb1e1, v98
	v_sub_f16_e32 v74, v74, v79
	v_fmamk_f16 v75, v71, 0x39e9, v70
	v_fma_f16 v70, v71, 0x39e9, -v70
	v_fmamk_f16 v76, v71, 0x3722, v72
	v_fma_f16 v72, v71, 0x3722, -v72
	;; [unrolled: 2-line block ×5, first 2 shown]
	v_fma_f16 v79, v71, 0xbacd, -v105
	v_add_f16_e32 v105, v32, v106
	v_fmamk_f16 v106, v71, 0xbbdd, v98
	v_add_f16_e32 v66, v66, v69
	v_mul_f16_e32 v69, 0xb964, v74
	v_fma_f16 v71, v71, 0xbbdd, -v98
	v_add_f16_e32 v64, v32, v64
	v_add_f16_e32 v47, v32, v47
	;; [unrolled: 1-line block ×14, first 2 shown]
	v_mul_f16_e32 v106, 0xbbf7, v74
	v_fmamk_f16 v107, v66, 0x39e9, v69
	v_fma_f16 v69, v66, 0x39e9, -v69
	v_add_f16_e32 v32, v32, v71
	v_mul_f16_e32 v71, 0xba62, v74
	v_fmamk_f16 v108, v66, 0x2de8, v106
	v_add_f16_e32 v64, v107, v64
	v_add_f16_e32 v47, v69, v47
	v_fma_f16 v69, v66, 0x2de8, -v106
	v_fmamk_f16 v106, v66, 0xb8d2, v71
	v_mul_f16_e32 v107, 0xb1e1, v74
	v_fma_f16 v71, v66, 0xb8d2, -v71
	v_add_f16_e32 v75, v108, v75
	v_add_f16_e32 v69, v69, v70
	;; [unrolled: 1-line block ×3, first 2 shown]
	v_mul_f16_e32 v76, 0x3836, v74
	v_fmamk_f16 v106, v66, 0xbbdd, v107
	v_add_f16_e32 v71, v71, v72
	v_fma_f16 v72, v66, 0xbbdd, -v107
	v_mul_f16_e32 v107, 0x3bb2, v74
	v_fmamk_f16 v108, v66, 0xbacd, v76
	v_fma_f16 v76, v66, 0xbacd, -v76
	v_sub_f16_e32 v68, v68, v73
	v_add_f16_e32 v72, v72, v97
	v_fmamk_f16 v97, v66, 0xb461, v107
	v_add_f16_e32 v99, v106, v99
	v_add_f16_e32 v76, v76, v100
	v_mul_f16_e32 v100, 0x3b29, v74
	v_mul_f16_e32 v74, 0x35c8, v74
	v_fma_f16 v106, v66, 0xb461, -v107
	v_add_f16_e32 v97, v97, v104
	v_add_f16_e32 v61, v61, v65
	v_fmamk_f16 v73, v66, 0x3722, v100
	v_fma_f16 v100, v66, 0x3722, -v100
	v_fmamk_f16 v104, v66, 0x3b76, v74
	v_mul_f16_e32 v65, 0xbb29, v68
	v_fma_f16 v66, v66, 0x3b76, -v74
	v_add_f16_e32 v73, v73, v105
	v_add_f16_e32 v74, v100, v79
	;; [unrolled: 1-line block ×3, first 2 shown]
	v_fmamk_f16 v98, v61, 0x3722, v65
	v_mul_f16_e32 v100, 0xba62, v68
	v_add_f16_e32 v32, v66, v32
	v_fma_f16 v65, v61, 0x3722, -v65
	v_mul_f16_e32 v66, 0x31e1, v68
	v_add_f16_e32 v64, v98, v64
	v_fmamk_f16 v98, v61, 0xb8d2, v100
	v_mul_f16_e32 v104, 0x3bb2, v68
	v_add_f16_e32 v47, v65, v47
	v_fmamk_f16 v65, v61, 0xbbdd, v66
	v_fma_f16 v100, v61, 0xb8d2, -v100
	v_add_f16_e32 v75, v98, v75
	v_mul_f16_e32 v98, 0x3964, v68
	v_fma_f16 v66, v61, 0xbbdd, -v66
	v_add_f16_e32 v65, v65, v70
	v_fmamk_f16 v70, v61, 0xb461, v104
	v_add_f16_e32 v69, v100, v69
	v_fma_f16 v100, v61, 0xb461, -v104
	v_mul_f16_e32 v104, 0xbbf7, v68
	v_add_f16_e32 v66, v66, v71
	v_add_f16_e32 v70, v70, v99
	v_fmamk_f16 v99, v61, 0x39e9, v98
	v_fma_f16 v98, v61, 0x39e9, -v98
	v_mul_f16_e32 v71, 0xb5c8, v68
	v_mul_f16_e32 v68, 0xb836, v68
	v_sub_f16_e32 v63, v63, v67
	v_fma_f16 v67, v61, 0x2de8, -v104
	v_add_f16_e32 v76, v98, v76
	v_fmamk_f16 v98, v61, 0x2de8, v104
	v_add_f16_e32 v58, v58, v59
	v_mul_f16_e32 v59, 0xbbf7, v63
	v_add_f16_e32 v72, v100, v72
	v_fmamk_f16 v100, v61, 0x3b76, v71
	v_add_f16_e32 v73, v98, v73
	v_fmamk_f16 v98, v61, 0xbacd, v68
	v_fma_f16 v71, v61, 0x3b76, -v71
	v_add_f16_e32 v67, v67, v74
	v_fma_f16 v61, v61, 0xbacd, -v68
	v_mul_f16_e32 v74, 0xb1e1, v63
	v_add_f16_e32 v68, v98, v79
	v_fmamk_f16 v79, v58, 0x2de8, v59
	v_fma_f16 v59, v58, 0x2de8, -v59
	v_add_f16_e32 v32, v61, v32
	v_mul_f16_e32 v61, 0x3bb2, v63
	v_fmamk_f16 v98, v58, 0xbbdd, v74
	v_add_f16_e32 v64, v79, v64
	v_add_f16_e32 v47, v59, v47
	v_fma_f16 v59, v58, 0xbbdd, -v74
	v_fmamk_f16 v74, v58, 0xb461, v61
	v_mul_f16_e32 v79, 0x35c8, v63
	v_fma_f16 v61, v58, 0xb461, -v61
	v_add_f16_e32 v101, v106, v101
	v_add_f16_e32 v59, v59, v69
	v_mul_f16_e32 v69, 0xbb29, v63
	v_add_f16_e32 v75, v98, v75
	v_add_f16_e32 v65, v74, v65
	v_fmamk_f16 v74, v58, 0x3b76, v79
	v_add_f16_e32 v61, v61, v66
	v_fma_f16 v66, v58, 0x3b76, -v79
	v_mul_f16_e32 v79, 0xb836, v63
	v_fmamk_f16 v98, v58, 0x3722, v69
	v_fma_f16 v69, v58, 0x3722, -v69
	v_add_f16_e32 v71, v71, v101
	v_add_f16_e32 v66, v66, v72
	v_fmamk_f16 v72, v58, 0xbacd, v79
	v_fma_f16 v79, v58, 0xbacd, -v79
	v_add_f16_e32 v69, v69, v76
	v_mul_f16_e32 v76, 0x3a62, v63
	v_mul_f16_e32 v63, 0x3964, v63
	v_sub_f16_e32 v60, v60, v62
	v_add_f16_e32 v71, v79, v71
	v_add_f16_e32 v54, v54, v55
	v_fmamk_f16 v62, v58, 0xb8d2, v76
	v_fma_f16 v76, v58, 0xb8d2, -v76
	v_fmamk_f16 v79, v58, 0x39e9, v63
	v_mul_f16_e32 v55, 0xbbb2, v60
	v_fma_f16 v58, v58, 0x39e9, -v63
	v_add_f16_e32 v62, v62, v73
	v_add_f16_e32 v63, v76, v67
	;; [unrolled: 1-line block ×3, first 2 shown]
	v_fmamk_f16 v68, v54, 0xb461, v55
	v_mul_f16_e32 v73, 0x3836, v60
	v_add_f16_e32 v32, v58, v32
	v_fma_f16 v55, v54, 0xb461, -v55
	v_mul_f16_e32 v58, 0x3964, v60
	v_add_f16_e32 v64, v68, v64
	v_fmamk_f16 v68, v54, 0xbacd, v73
	v_mul_f16_e32 v76, 0xbb29, v60
	v_add_f16_e32 v47, v55, v47
	v_fmamk_f16 v55, v54, 0x39e9, v58
	v_fma_f16 v58, v54, 0x39e9, -v58
	v_fma_f16 v73, v54, 0xbacd, -v73
	v_add_f16_e32 v68, v68, v75
	v_fma_f16 v75, v54, 0x3722, -v76
	v_add_f16_e32 v70, v74, v70
	v_add_f16_e32 v58, v58, v61
	v_mul_f16_e32 v61, 0x3bf7, v60
	v_add_f16_e32 v59, v73, v59
	v_add_f16_e32 v55, v55, v65
	v_fmamk_f16 v65, v54, 0x3722, v76
	v_mul_f16_e32 v73, 0xb1e1, v60
	v_add_f16_e32 v66, v75, v66
	v_fmamk_f16 v75, v54, 0x2de8, v61
	v_mul_f16_e32 v76, 0xb5c8, v60
	v_fma_f16 v61, v54, 0x2de8, -v61
	v_mul_f16_e32 v60, 0xba62, v60
	v_sub_f16_e32 v56, v56, v57
	v_add_f16_e32 v65, v65, v70
	v_fmamk_f16 v70, v54, 0xbbdd, v73
	v_fma_f16 v73, v54, 0xbbdd, -v73
	v_add_f16_e32 v61, v61, v71
	v_fma_f16 v57, v54, 0x3b76, -v76
	v_fmamk_f16 v71, v54, 0xb8d2, v60
	v_add_f16_e32 v50, v50, v51
	v_mul_f16_e32 v51, 0xba62, v56
	v_add_f16_e32 v69, v73, v69
	v_fmamk_f16 v73, v54, 0x3b76, v76
	v_add_f16_e32 v57, v57, v63
	v_fma_f16 v54, v54, 0xb8d2, -v60
	v_add_f16_e32 v60, v71, v67
	v_mul_f16_e32 v63, 0x3bb2, v56
	v_fmamk_f16 v67, v50, 0xb8d2, v51
	v_fma_f16 v51, v50, 0xb8d2, -v51
	v_add_f16_e32 v32, v54, v32
	v_mul_f16_e32 v54, 0xb5c8, v56
	v_fmamk_f16 v71, v50, 0xb461, v63
	v_add_f16_e32 v64, v67, v64
	v_add_f16_e32 v47, v51, v47
	v_fma_f16 v51, v50, 0xb461, -v63
	v_fmamk_f16 v63, v50, 0x3b76, v54
	v_add_f16_e32 v67, v71, v68
	v_mul_f16_e32 v68, 0xb836, v56
	v_fma_f16 v54, v50, 0x3b76, -v54
	v_add_f16_e32 v51, v51, v59
	v_mul_f16_e32 v59, 0x3bf7, v56
	v_add_f16_e32 v55, v63, v55
	v_fmamk_f16 v63, v50, 0xbacd, v68
	v_add_f16_e32 v54, v54, v58
	v_fma_f16 v58, v50, 0xbacd, -v68
	v_mul_f16_e32 v68, 0xb964, v56
	v_fmamk_f16 v71, v50, 0x2de8, v59
	v_fma_f16 v59, v50, 0x2de8, -v59
	v_add_f16_e32 v63, v63, v65
	v_sub_f16_e32 v52, v52, v53
	v_fmamk_f16 v65, v50, 0x39e9, v68
	v_fma_f16 v68, v50, 0x39e9, -v68
	v_add_f16_e32 v59, v59, v69
	v_mul_f16_e32 v69, 0xb1e1, v56
	v_mul_f16_e32 v56, 0x3b29, v56
	v_add_f16_e32 v62, v73, v62
	v_add_f16_e32 v61, v68, v61
	;; [unrolled: 1-line block ×3, first 2 shown]
	v_fmamk_f16 v53, v50, 0xbbdd, v69
	v_fma_f16 v68, v50, 0xbbdd, -v69
	v_fmamk_f16 v69, v50, 0x3722, v56
	v_mul_f16_e32 v46, 0xb836, v52
	v_fma_f16 v50, v50, 0x3722, -v56
	v_add_f16_e32 v53, v53, v62
	v_add_f16_e32 v56, v68, v57
	;; [unrolled: 1-line block ×3, first 2 shown]
	v_fmamk_f16 v60, v45, 0xbacd, v46
	v_mul_f16_e32 v62, 0x3b29, v52
	v_add_f16_e32 v32, v50, v32
	v_fma_f16 v46, v45, 0xbacd, -v46
	v_mul_f16_e32 v50, 0xbbf7, v52
	v_add_f16_e32 v97, v100, v97
	v_add_f16_e32 v60, v60, v64
	v_fmamk_f16 v64, v45, 0x3722, v62
	v_add_f16_e32 v46, v46, v47
	v_fmamk_f16 v47, v45, 0x2de8, v50
	v_mul_f16_e32 v68, 0x3a62, v52
	v_fma_f16 v50, v45, 0x2de8, -v50
	v_add_f16_e32 v72, v72, v97
	v_add_f16_e32 v58, v58, v66
	v_fma_f16 v62, v45, 0x3722, -v62
	v_add_f16_e32 v64, v64, v67
	v_fma_f16 v67, v45, 0xb8d2, -v68
	v_add_f16_e32 v50, v50, v54
	v_mul_f16_e32 v54, 0xb1e1, v52
	v_add_f16_e32 v72, v75, v72
	v_add_f16_e32 v51, v62, v51
	;; [unrolled: 1-line block ×3, first 2 shown]
	v_fmamk_f16 v55, v45, 0xb8d2, v68
	v_mul_f16_e32 v62, 0xb5c8, v52
	v_add_f16_e32 v58, v67, v58
	v_fmamk_f16 v67, v45, 0xbbdd, v54
	v_mul_f16_e32 v68, 0x3964, v52
	v_fma_f16 v54, v45, 0xbbdd, -v54
	v_mul_f16_e32 v52, 0xbbb2, v52
	v_sub_f16_e32 v48, v48, v49
	v_add_f16_e32 v65, v65, v72
	v_add_f16_e32 v55, v55, v63
	v_fmamk_f16 v63, v45, 0x3b76, v62
	v_fma_f16 v62, v45, 0x3b76, -v62
	v_add_f16_e32 v54, v54, v61
	v_fma_f16 v49, v45, 0x39e9, -v68
	v_fmamk_f16 v61, v45, 0xb461, v52
	v_add_f16_e32 v43, v43, v44
	v_mul_f16_e32 v44, 0xb1e1, v48
	v_add_f16_e32 v102, v108, v102
	v_add_f16_e32 v59, v62, v59
	;; [unrolled: 1-line block ×3, first 2 shown]
	v_fmamk_f16 v65, v45, 0x39e9, v68
	v_add_f16_e32 v49, v49, v56
	v_fma_f16 v45, v45, 0xb461, -v52
	v_add_f16_e32 v52, v61, v57
	v_mul_f16_e32 v56, 0x35c8, v48
	v_fmamk_f16 v57, v43, 0xbbdd, v44
	v_fma_f16 v44, v43, 0xbbdd, -v44
	v_add_f16_e32 v99, v99, v102
	v_add_f16_e32 v32, v45, v32
	v_mul_f16_e32 v45, 0xb836, v48
	v_fmamk_f16 v61, v43, 0x3b76, v56
	v_add_f16_e32 v97, v44, v46
	v_fma_f16 v44, v43, 0x3b76, -v56
	v_add_f16_e32 v74, v98, v99
	v_fmamk_f16 v46, v43, 0xbacd, v45
	v_mul_f16_e32 v56, 0x3964, v48
	v_fma_f16 v45, v43, 0xbacd, -v45
	v_add_f16_e32 v99, v44, v51
	v_mul_f16_e32 v44, 0xba62, v48
	v_add_f16_e32 v70, v70, v74
	v_add_f16_e32 v100, v46, v47
	v_fmamk_f16 v46, v43, 0x39e9, v56
	v_add_f16_e32 v101, v45, v50
	v_fma_f16 v45, v43, 0x39e9, -v56
	v_mul_f16_e32 v47, 0x3b29, v48
	v_fmamk_f16 v50, v43, 0xb8d2, v44
	v_fma_f16 v44, v43, 0xb8d2, -v44
	v_add_f16_e32 v66, v71, v70
	v_add_f16_e32 v102, v46, v55
	;; [unrolled: 1-line block ×3, first 2 shown]
	v_fmamk_f16 v45, v43, 0x3722, v47
	v_mul_f16_e32 v46, 0xbbb2, v48
	v_add_f16_e32 v106, v44, v59
	v_mul_f16_e32 v44, 0x3bf7, v48
	v_add_f16_e32 v63, v63, v66
	v_add_f16_e32 v53, v65, v53
	;; [unrolled: 1-line block ×3, first 2 shown]
	v_fma_f16 v45, v43, 0x3722, -v47
	v_fmamk_f16 v47, v43, 0xb461, v46
	v_fma_f16 v46, v43, 0xb461, -v46
	v_fmamk_f16 v48, v43, 0x2de8, v44
	v_fma_f16 v43, v43, 0x2de8, -v44
	v_add_f16_e32 v79, v57, v60
	v_add_f16_e32 v98, v61, v64
	;; [unrolled: 1-line block ×8, first 2 shown]
	s_waitcnt lgkmcnt(0)
	s_barrier
	buffer_gl0_inv
	ds_read_u16 v48, v26 offset:510
	ds_read_u16 v49, v26 offset:748
	;; [unrolled: 1-line block ×6, first 2 shown]
	ds_read_u16 v32, v21
	ds_read_u16 v43, v26 offset:34
	ds_read_u16 v52, v26 offset:68
	;; [unrolled: 1-line block ×28, first 2 shown]
	s_waitcnt lgkmcnt(0)
	s_barrier
	buffer_gl0_inv
	ds_write_b16 v91, v103
	ds_write_b16 v91, v81 offset:14
	ds_write_b16 v91, v84 offset:28
	;; [unrolled: 1-line block ×16, first 2 shown]
	ds_write_b16 v96, v82
	ds_write_b16 v96, v79 offset:14
	ds_write_b16 v96, v98 offset:28
	ds_write_b16 v96, v100 offset:42
	ds_write_b16 v96, v102 offset:56
	ds_write_b16 v96, v105 offset:70
	ds_write_b16 v96, v107 offset:84
	ds_write_b16 v96, v109 offset:98
	ds_write_b16 v96, v111 offset:112
	ds_write_b16 v96, v112 offset:126
	ds_write_b16 v96, v110 offset:140
	ds_write_b16 v96, v108 offset:154
	ds_write_b16 v96, v106 offset:168
	ds_write_b16 v96, v104 offset:182
	ds_write_b16 v96, v101 offset:196
	ds_write_b16 v96, v99 offset:210
	ds_write_b16 v96, v97 offset:224
	s_and_saveexec_b32 s1, s0
	s_cbranch_execz .LBB0_18
; %bb.17:
	v_add_f16_e32 v77, v1, v38
	v_sub_f16_e32 v41, v41, v42
	v_add_f16_e32 v42, v36, v34
	v_add_f16_e32 v38, v38, v35
	v_sub_f16_e32 v39, v39, v40
	v_add_f16_e32 v36, v77, v36
	v_mul_f16_e32 v40, 0xb5c8, v41
	v_mul_f16_e32 v77, 0xb964, v41
	;; [unrolled: 1-line block ×4, first 2 shown]
	v_add_f16_e32 v36, v36, v25
	v_mul_f16_e32 v80, 0xbbb2, v41
	v_mul_f16_e32 v81, 0xba62, v41
	;; [unrolled: 1-line block ×4, first 2 shown]
	v_add_f16_e32 v36, v36, v17
	v_mul_f16_e32 v83, 0xb964, v39
	v_mul_f16_e32 v84, 0xbbf7, v39
	v_fmamk_f16 v88, v38, 0x3b76, v40
	v_fma_f16 v40, v38, 0x3b76, -v40
	v_add_f16_e32 v36, v36, v13
	v_fmamk_f16 v89, v38, 0x39e9, v77
	v_fma_f16 v77, v38, 0x39e9, -v77
	v_mul_f16_e32 v86, 0xb1e1, v39
	v_mul_f16_e32 v87, 0x3836, v39
	v_add_f16_e32 v36, v36, v9
	v_fmamk_f16 v90, v38, 0x3722, v78
	v_fma_f16 v78, v38, 0x3722, -v78
	v_fmamk_f16 v91, v38, 0x2de8, v79
	v_fma_f16 v79, v38, 0x2de8, -v79
	v_add_f16_e32 v36, v36, v5
	v_fmamk_f16 v92, v38, 0xb461, v80
	v_fma_f16 v80, v38, 0xb461, -v80
	v_fmamk_f16 v93, v38, 0xb8d2, v81
	v_fma_f16 v81, v38, 0xb8d2, -v81
	;; [unrolled: 5-line block ×4, first 2 shown]
	v_add_f16_e32 v36, v36, v6
	v_add_f16_e32 v88, v1, v88
	;; [unrolled: 1-line block ×23, first 2 shown]
	v_mul_f16_e32 v84, 0x3bb2, v39
	v_mul_f16_e32 v85, 0xba62, v39
	v_add_f16_e32 v34, v36, v34
	v_add_f16_e32 v36, v83, v40
	v_fma_f16 v83, v42, 0xbbdd, -v86
	v_sub_f16_e32 v33, v33, v37
	v_fmamk_f16 v97, v42, 0xb8d2, v85
	v_add_f16_e32 v34, v34, v35
	v_fmamk_f16 v35, v42, 0xbbdd, v86
	v_fma_f16 v86, v42, 0xbacd, -v87
	v_add_f16_e32 v79, v83, v79
	v_fmamk_f16 v83, v42, 0xb461, v84
	v_fma_f16 v84, v42, 0xb461, -v84
	v_fma_f16 v85, v42, 0xb8d2, -v85
	v_add_f16_e32 v80, v86, v80
	v_mul_f16_e32 v86, 0x3b29, v39
	v_mul_f16_e32 v39, 0x35c8, v39
	v_add_f16_e32 v81, v84, v81
	v_add_f16_e32 v25, v25, v31
	v_mul_f16_e32 v31, 0xbb29, v33
	v_fmamk_f16 v37, v42, 0x3722, v86
	v_fma_f16 v84, v42, 0x3722, -v86
	v_fmamk_f16 v86, v42, 0x3b76, v39
	v_fma_f16 v39, v42, 0x3b76, -v39
	v_add_f16_e32 v78, v85, v78
	v_fmamk_f16 v85, v42, 0xbacd, v87
	v_add_f16_e32 v42, v84, v82
	v_add_f16_e32 v82, v86, v95
	v_fmamk_f16 v84, v25, 0x3722, v31
	v_mul_f16_e32 v86, 0xba62, v33
	v_add_f16_e32 v1, v39, v1
	v_fma_f16 v31, v25, 0x3722, -v31
	v_mul_f16_e32 v39, 0x31e1, v33
	v_add_f16_e32 v38, v84, v38
	v_fmamk_f16 v84, v25, 0xb8d2, v86
	v_fma_f16 v86, v25, 0xb8d2, -v86
	v_add_f16_e32 v31, v31, v36
	v_fmamk_f16 v36, v25, 0xbbdd, v39
	v_mul_f16_e32 v87, 0x3bb2, v33
	v_fma_f16 v39, v25, 0xbbdd, -v39
	v_add_f16_e32 v40, v96, v89
	v_add_f16_e32 v77, v97, v90
	;; [unrolled: 1-line block ×3, first 2 shown]
	v_fma_f16 v86, v25, 0xb461, -v87
	v_add_f16_e32 v39, v39, v78
	v_mul_f16_e32 v78, 0xb5c8, v33
	v_add_f16_e32 v35, v35, v91
	v_add_f16_e32 v40, v84, v40
	;; [unrolled: 1-line block ×3, first 2 shown]
	v_fmamk_f16 v77, v25, 0xb461, v87
	v_mul_f16_e32 v84, 0x3964, v33
	v_add_f16_e32 v79, v86, v79
	v_fmamk_f16 v86, v25, 0x3b76, v78
	v_mul_f16_e32 v87, 0xbbf7, v33
	v_fma_f16 v78, v25, 0x3b76, -v78
	v_mul_f16_e32 v33, 0xb836, v33
	v_sub_f16_e32 v29, v29, v30
	v_add_f16_e32 v35, v77, v35
	v_fmamk_f16 v77, v25, 0x39e9, v84
	v_fma_f16 v84, v25, 0x39e9, -v84
	v_add_f16_e32 v78, v78, v81
	v_fma_f16 v30, v25, 0x2de8, -v87
	v_fmamk_f16 v81, v25, 0xbacd, v33
	v_add_f16_e32 v17, v17, v19
	v_mul_f16_e32 v19, 0xbbf7, v29
	v_add_f16_e32 v80, v84, v80
	v_fmamk_f16 v84, v25, 0x2de8, v87
	v_add_f16_e32 v30, v30, v42
	v_fma_f16 v25, v25, 0xbacd, -v33
	v_add_f16_e32 v33, v81, v82
	v_mul_f16_e32 v42, 0xb1e1, v29
	v_fmamk_f16 v81, v17, 0x2de8, v19
	v_fma_f16 v19, v17, 0x2de8, -v19
	v_add_f16_e32 v1, v25, v1
	v_mul_f16_e32 v25, 0x3bb2, v29
	v_fmamk_f16 v82, v17, 0xbbdd, v42
	v_add_f16_e32 v38, v81, v38
	v_add_f16_e32 v19, v19, v31
	v_fma_f16 v31, v17, 0xbbdd, -v42
	v_fmamk_f16 v42, v17, 0xb461, v25
	v_mul_f16_e32 v81, 0x35c8, v29
	v_fma_f16 v25, v17, 0xb461, -v25
	v_add_f16_e32 v40, v82, v40
	v_add_f16_e32 v31, v31, v41
	v_mul_f16_e32 v41, 0xbb29, v29
	v_add_f16_e32 v36, v42, v36
	v_fmamk_f16 v42, v17, 0x3b76, v81
	v_add_f16_e32 v25, v25, v39
	v_fma_f16 v39, v17, 0x3b76, -v81
	v_mul_f16_e32 v81, 0xb836, v29
	v_fmamk_f16 v82, v17, 0x3722, v41
	v_fma_f16 v41, v17, 0x3722, -v41
	v_add_f16_e32 v37, v37, v94
	v_add_f16_e32 v39, v39, v79
	v_fma_f16 v79, v17, 0xbacd, -v81
	v_sub_f16_e32 v18, v18, v24
	v_add_f16_e32 v41, v41, v80
	v_mul_f16_e32 v80, 0x3a62, v29
	v_mul_f16_e32 v29, 0x3964, v29
	v_add_f16_e32 v37, v84, v37
	v_add_f16_e32 v35, v42, v35
	v_fmamk_f16 v42, v17, 0xbacd, v81
	v_add_f16_e32 v78, v79, v78
	v_fmamk_f16 v24, v17, 0xb8d2, v80
	v_fma_f16 v79, v17, 0xb8d2, -v80
	v_fmamk_f16 v80, v17, 0x39e9, v29
	v_add_f16_e32 v13, v13, v15
	v_mul_f16_e32 v15, 0xbbb2, v18
	v_fma_f16 v17, v17, 0x39e9, -v29
	v_add_f16_e32 v24, v24, v37
	v_add_f16_e32 v29, v79, v30
	;; [unrolled: 1-line block ×3, first 2 shown]
	v_fmamk_f16 v33, v13, 0xb461, v15
	v_mul_f16_e32 v37, 0x3836, v18
	v_add_f16_e32 v1, v17, v1
	v_fma_f16 v15, v13, 0xb461, -v15
	v_mul_f16_e32 v17, 0x3964, v18
	v_add_f16_e32 v33, v33, v38
	v_fmamk_f16 v38, v13, 0xbacd, v37
	v_fma_f16 v37, v13, 0xbacd, -v37
	v_add_f16_e32 v15, v15, v19
	v_fmamk_f16 v19, v13, 0x39e9, v17
	v_mul_f16_e32 v79, 0xbb29, v18
	v_add_f16_e32 v38, v38, v40
	v_add_f16_e32 v31, v37, v31
	v_mul_f16_e32 v37, 0xb1e1, v18
	v_add_f16_e32 v19, v19, v36
	v_fmamk_f16 v36, v13, 0x3722, v79
	v_fma_f16 v17, v13, 0x39e9, -v17
	v_fma_f16 v40, v13, 0x3722, -v79
	v_mul_f16_e32 v79, 0xb5c8, v18
	v_sub_f16_e32 v14, v14, v16
	v_add_f16_e32 v35, v36, v35
	v_fmamk_f16 v36, v13, 0xbbdd, v37
	v_fma_f16 v37, v13, 0xbbdd, -v37
	v_add_f16_e32 v17, v17, v25
	v_mul_f16_e32 v25, 0x3bf7, v18
	v_mul_f16_e32 v18, 0xba62, v18
	v_add_f16_e32 v39, v40, v39
	v_add_f16_e32 v37, v37, v41
	v_fmamk_f16 v41, v13, 0x3b76, v79
	v_fmamk_f16 v40, v13, 0x2de8, v25
	v_fma_f16 v25, v13, 0x2de8, -v25
	v_fma_f16 v16, v13, 0x3b76, -v79
	v_add_f16_e32 v9, v9, v10
	v_add_f16_e32 v24, v41, v24
	v_fmamk_f16 v41, v13, 0xb8d2, v18
	v_mul_f16_e32 v10, 0xba62, v14
	v_fma_f16 v13, v13, 0xb8d2, -v18
	v_add_f16_e32 v16, v16, v29
	v_mul_f16_e32 v29, 0x3bb2, v14
	v_add_f16_e32 v18, v41, v30
	v_fmamk_f16 v30, v9, 0xb8d2, v10
	v_fma_f16 v10, v9, 0xb8d2, -v10
	v_add_f16_e32 v1, v13, v1
	v_mul_f16_e32 v13, 0xb5c8, v14
	v_fmamk_f16 v41, v9, 0xb461, v29
	v_add_f16_e32 v30, v30, v33
	v_add_f16_e32 v10, v10, v15
	v_fma_f16 v15, v9, 0xb461, -v29
	v_fmamk_f16 v29, v9, 0x3b76, v13
	v_add_f16_e32 v33, v41, v38
	v_mul_f16_e32 v38, 0xb836, v14
	v_fma_f16 v13, v9, 0x3b76, -v13
	v_add_f16_e32 v15, v15, v31
	v_add_f16_e32 v19, v29, v19
	v_mul_f16_e32 v29, 0x3bf7, v14
	v_fmamk_f16 v31, v9, 0xbacd, v38
	v_add_f16_e32 v13, v13, v17
	v_fma_f16 v17, v9, 0xbacd, -v38
	v_mul_f16_e32 v38, 0xb964, v14
	v_fmamk_f16 v41, v9, 0x2de8, v29
	v_fma_f16 v29, v9, 0x2de8, -v29
	v_add_f16_e32 v25, v25, v78
	v_add_f16_e32 v31, v31, v35
	v_fmamk_f16 v35, v9, 0x39e9, v38
	v_fma_f16 v38, v9, 0x39e9, -v38
	v_add_f16_e32 v29, v29, v37
	v_mul_f16_e32 v37, 0xb1e1, v14
	v_mul_f16_e32 v14, 0x3b29, v14
	v_sub_f16_e32 v11, v11, v12
	v_add_f16_e32 v25, v38, v25
	v_add_f16_e32 v5, v5, v6
	v_fmamk_f16 v12, v9, 0xbbdd, v37
	v_fma_f16 v37, v9, 0xbbdd, -v37
	v_fmamk_f16 v38, v9, 0x3722, v14
	v_mul_f16_e32 v6, 0xb836, v11
	v_fma_f16 v9, v9, 0x3722, -v14
	v_add_f16_e32 v83, v83, v93
	v_add_f16_e32 v12, v12, v24
	;; [unrolled: 1-line block ×4, first 2 shown]
	v_fmamk_f16 v18, v5, 0xbacd, v6
	v_mul_f16_e32 v24, 0x3b29, v11
	v_add_f16_e32 v1, v9, v1
	v_fma_f16 v6, v5, 0xbacd, -v6
	v_mul_f16_e32 v9, 0xbbf7, v11
	v_add_f16_e32 v83, v86, v83
	v_add_f16_e32 v18, v18, v30
	v_fmamk_f16 v30, v5, 0x3722, v24
	v_add_f16_e32 v6, v6, v10
	v_fmamk_f16 v10, v5, 0x2de8, v9
	v_mul_f16_e32 v37, 0x3a62, v11
	v_fma_f16 v9, v5, 0x2de8, -v9
	v_add_f16_e32 v42, v42, v83
	v_add_f16_e32 v17, v17, v39
	v_fma_f16 v24, v5, 0x3722, -v24
	v_add_f16_e32 v30, v30, v33
	v_fma_f16 v33, v5, 0xb8d2, -v37
	v_add_f16_e32 v9, v9, v13
	v_mul_f16_e32 v13, 0xb1e1, v11
	v_add_f16_e32 v85, v85, v92
	v_add_f16_e32 v40, v40, v42
	;; [unrolled: 1-line block ×4, first 2 shown]
	v_fmamk_f16 v19, v5, 0xb8d2, v37
	v_mul_f16_e32 v24, 0xb5c8, v11
	v_add_f16_e32 v17, v33, v17
	v_fmamk_f16 v33, v5, 0xbbdd, v13
	v_mul_f16_e32 v37, 0x3964, v11
	v_fma_f16 v13, v5, 0xbbdd, -v13
	v_mul_f16_e32 v11, 0xbbb2, v11
	v_sub_f16_e32 v7, v7, v8
	v_add_f16_e32 v77, v77, v85
	v_add_f16_e32 v35, v35, v40
	;; [unrolled: 1-line block ×3, first 2 shown]
	v_fmamk_f16 v31, v5, 0x3b76, v24
	v_fma_f16 v24, v5, 0x3b76, -v24
	v_add_f16_e32 v13, v13, v25
	v_fma_f16 v8, v5, 0x39e9, -v37
	v_fmamk_f16 v25, v5, 0xb461, v11
	v_add_f16_e32 v3, v3, v4
	v_mul_f16_e32 v4, 0xb1e1, v7
	v_add_f16_e32 v77, v82, v77
	v_add_f16_e32 v24, v24, v29
	;; [unrolled: 1-line block ×3, first 2 shown]
	v_fmamk_f16 v33, v5, 0x39e9, v37
	v_add_f16_e32 v8, v8, v14
	v_fma_f16 v5, v5, 0xb461, -v11
	v_mul_f16_e32 v11, 0x35c8, v7
	v_add_f16_e32 v14, v25, v16
	v_fmamk_f16 v16, v3, 0xbbdd, v4
	v_fma_f16 v4, v3, 0xbbdd, -v4
	v_add_f16_e32 v36, v36, v77
	v_mul_f16_e32 v25, 0xb836, v7
	v_add_f16_e32 v1, v5, v1
	v_fmamk_f16 v5, v3, 0x3b76, v11
	v_add_f16_e32 v4, v4, v6
	v_fma_f16 v6, v3, 0x3b76, -v11
	v_add_f16_e32 v36, v41, v36
	v_add_f16_e32 v16, v16, v18
	v_fmamk_f16 v11, v3, 0xbacd, v25
	v_fma_f16 v18, v3, 0xbacd, -v25
	v_mul_f16_e32 v25, 0x3964, v7
	v_add_f16_e32 v6, v6, v15
	v_mul_f16_e32 v15, 0xba62, v7
	v_add_f16_e32 v31, v31, v36
	v_add_f16_e32 v10, v11, v10
	;; [unrolled: 1-line block ×3, first 2 shown]
	v_fmamk_f16 v11, v3, 0x39e9, v25
	v_fma_f16 v18, v3, 0x39e9, -v25
	v_fmamk_f16 v25, v3, 0xb8d2, v15
	v_add_f16_e32 v5, v5, v30
	v_mul_f16_e32 v30, 0x3b29, v7
	v_fma_f16 v15, v3, 0xb8d2, -v15
	v_add_f16_e32 v17, v18, v17
	v_add_f16_e32 v18, v25, v31
	v_mov_b32_e32 v25, 1
	v_add_f16_e32 v11, v11, v19
	v_fmamk_f16 v19, v3, 0x3722, v30
	v_add_f16_e32 v15, v15, v24
	v_fma_f16 v24, v3, 0x3722, -v30
	v_mul_f16_e32 v30, 0xbbb2, v7
	v_mul_f16_e32 v7, 0x3bf7, v7
	v_lshlrev_b32_sdwa v2, v25, v2 dst_sel:DWORD dst_unused:UNUSED_PAD src0_sel:DWORD src1_sel:BYTE_0
	v_add_f16_e32 v12, v33, v12
	v_add_f16_e32 v19, v19, v29
	;; [unrolled: 1-line block ×3, first 2 shown]
	v_fmamk_f16 v24, v3, 0xb461, v30
	v_fma_f16 v25, v3, 0xb461, -v30
	v_fmamk_f16 v29, v3, 0x2de8, v7
	v_fma_f16 v3, v3, 0x2de8, -v7
	v_add3_u32 v0, 0, v2, v0
	v_add_f16_e32 v2, v24, v12
	v_add_f16_e32 v7, v25, v8
	;; [unrolled: 1-line block ×4, first 2 shown]
	ds_write_b16 v0, v34 offset:952
	ds_write_b16 v0, v16 offset:966
	;; [unrolled: 1-line block ×17, first 2 shown]
.LBB0_18:
	s_or_b32 exec_lo, exec_lo, s1
	s_waitcnt lgkmcnt(0)
	s_barrier
	buffer_gl0_inv
	s_and_saveexec_b32 s0, vcc_lo
	s_cbranch_execz .LBB0_20
; %bb.19:
	v_add_nc_u32_e32 v29, 0x66, v20
	v_mov_b32_e32 v25, 0
	v_add_nc_u32_e32 v30, 0x55, v20
	v_add_nc_u32_e32 v31, 0x44, v20
	;; [unrolled: 1-line block ×3, first 2 shown]
	v_lshlrev_b32_e32 v24, 2, v29
	v_lshlrev_b64 v[0:1], 2, v[24:25]
	v_lshlrev_b32_e32 v24, 2, v30
	v_add_co_u32 v0, vcc_lo, s8, v0
	v_add_co_ci_u32_e32 v1, vcc_lo, s9, v1, vcc_lo
	global_load_dwordx4 v[4:7], v[0:1], off offset:448
	v_lshlrev_b64 v[0:1], 2, v[24:25]
	v_lshlrev_b32_e32 v24, 2, v31
	v_lshlrev_b64 v[8:9], 2, v[24:25]
	v_lshlrev_b32_e32 v24, 2, v33
	v_add_co_u32 v0, vcc_lo, s8, v0
	v_add_co_ci_u32_e32 v1, vcc_lo, s9, v1, vcc_lo
	v_lshlrev_b64 v[12:13], 2, v[24:25]
	v_add_co_u32 v8, vcc_lo, s8, v8
	global_load_dwordx4 v[0:3], v[0:1], off offset:448
	v_add_co_ci_u32_e32 v9, vcc_lo, s9, v9, vcc_lo
	v_add_co_u32 v12, vcc_lo, s8, v12
	v_add_co_ci_u32_e32 v13, vcc_lo, s9, v13, vcc_lo
	global_load_dwordx4 v[8:11], v[8:9], off offset:448
	v_lshlrev_b32_e32 v24, 2, v27
	global_load_dwordx4 v[16:19], v[12:13], off offset:448
	v_lshlrev_b64 v[12:13], 2, v[24:25]
	v_lshlrev_b32_e32 v24, 2, v28
	v_add_co_u32 v12, vcc_lo, s8, v12
	v_add_co_ci_u32_e32 v13, vcc_lo, s9, v13, vcc_lo
	v_lshlrev_b64 v[36:37], 2, v[24:25]
	v_lshlrev_b32_e32 v24, 2, v20
	global_load_dwordx4 v[12:15], v[12:13], off offset:448
	ds_read_u16 v34, v26 offset:442
	ds_read_u16 v40, v26 offset:1156
	;; [unrolled: 1-line block ×21, first 2 shown]
	v_lshlrev_b64 v[38:39], 2, v[24:25]
	v_add_co_u32 v36, vcc_lo, s8, v36
	v_add_co_ci_u32_e32 v37, vcc_lo, s9, v37, vcc_lo
	ds_read_u16 v100, v26 offset:204
	ds_read_u16 v101, v26 offset:170
	;; [unrolled: 1-line block ×7, first 2 shown]
	v_add_co_u32 v38, vcc_lo, s8, v38
	v_add_co_ci_u32_e32 v39, vcc_lo, s9, v39, vcc_lo
	ds_read_u16 v24, v26 offset:408
	ds_read_u16 v107, v26 offset:374
	;; [unrolled: 1-line block ×5, first 2 shown]
	s_clause 0x1
	global_load_dwordx4 v[77:80], v[36:37], off offset:448
	global_load_dwordx4 v[81:84], v[38:39], off offset:448
	ds_read_u16 v26, v26 offset:34
	ds_read_u16 v21, v21
	s_waitcnt vmcnt(6)
	v_mul_f16_sdwa v36, v73, v4 dst_sel:DWORD dst_unused:UNUSED_PAD src0_sel:DWORD src1_sel:WORD_1
	v_mul_f16_sdwa v37, v74, v5 dst_sel:DWORD dst_unused:UNUSED_PAD src0_sel:DWORD src1_sel:WORD_1
	;; [unrolled: 1-line block ×4, first 2 shown]
	s_waitcnt lgkmcnt(19)
	v_mul_f16_sdwa v111, v28, v5 dst_sel:DWORD dst_unused:UNUSED_PAD src0_sel:DWORD src1_sel:WORD_1
	v_mul_f16_sdwa v112, v88, v6 dst_sel:DWORD dst_unused:UNUSED_PAD src0_sel:DWORD src1_sel:WORD_1
	;; [unrolled: 1-line block ×4, first 2 shown]
	v_fmac_f16_e32 v36, v34, v4
	v_fmac_f16_e32 v37, v28, v5
	v_fmac_f16_e32 v38, v40, v7
	v_fmac_f16_e32 v39, v88, v6
	v_fma_f16 v5, v74, v5, -v111
	v_fma_f16 v28, v75, v6, -v112
	;; [unrolled: 1-line block ×4, first 2 shown]
	s_waitcnt vmcnt(5)
	v_mul_f16_sdwa v6, v69, v0 dst_sel:DWORD dst_unused:UNUSED_PAD src0_sel:DWORD src1_sel:WORD_1
	v_mul_f16_sdwa v40, v70, v1 dst_sel:DWORD dst_unused:UNUSED_PAD src0_sel:DWORD src1_sel:WORD_1
	v_mul_f16_sdwa v73, v72, v3 dst_sel:DWORD dst_unused:UNUSED_PAD src0_sel:DWORD src1_sel:WORD_1
	v_mul_f16_sdwa v74, v71, v2 dst_sel:DWORD dst_unused:UNUSED_PAD src0_sel:DWORD src1_sel:WORD_1
	s_waitcnt lgkmcnt(18)
	v_mul_f16_sdwa v7, v95, v1 dst_sel:DWORD dst_unused:UNUSED_PAD src0_sel:DWORD src1_sel:WORD_1
	v_mul_f16_sdwa v75, v89, v2 dst_sel:DWORD dst_unused:UNUSED_PAD src0_sel:DWORD src1_sel:WORD_1
	s_waitcnt lgkmcnt(6)
	v_mul_f16_sdwa v76, v24, v0 dst_sel:DWORD dst_unused:UNUSED_PAD src0_sel:DWORD src1_sel:WORD_1
	v_mul_f16_sdwa v88, v42, v3 dst_sel:DWORD dst_unused:UNUSED_PAD src0_sel:DWORD src1_sel:WORD_1
	v_sub_f16_e32 v111, v36, v37
	v_sub_f16_e32 v112, v38, v39
	;; [unrolled: 1-line block ×3, first 2 shown]
	v_add_f16_e32 v115, v37, v39
	v_sub_f16_e32 v116, v4, v5
	v_sub_f16_e32 v117, v34, v28
	v_add_f16_e32 v118, v5, v28
	v_sub_f16_e32 v119, v36, v38
	v_sub_f16_e32 v121, v37, v36
	;; [unrolled: 1-line block ×3, first 2 shown]
	v_add_f16_e32 v123, v36, v38
	v_sub_f16_e32 v124, v5, v4
	v_sub_f16_e32 v125, v28, v34
	v_add_f16_e32 v126, v4, v34
	v_add_f16_e32 v36, v36, v100
	;; [unrolled: 1-line block ×3, first 2 shown]
	v_fmac_f16_e32 v6, v24, v0
	v_fmac_f16_e32 v40, v95, v1
	;; [unrolled: 1-line block ×4, first 2 shown]
	v_fma_f16 v24, v70, v1, -v7
	v_fma_f16 v42, v71, v2, -v75
	;; [unrolled: 1-line block ×4, first 2 shown]
	s_waitcnt vmcnt(4)
	v_mul_f16_sdwa v70, v64, v8 dst_sel:DWORD dst_unused:UNUSED_PAD src0_sel:DWORD src1_sel:WORD_1
	v_mul_f16_sdwa v71, v65, v9 dst_sel:DWORD dst_unused:UNUSED_PAD src0_sel:DWORD src1_sel:WORD_1
	;; [unrolled: 1-line block ×6, first 2 shown]
	s_waitcnt lgkmcnt(5)
	v_mul_f16_sdwa v89, v107, v8 dst_sel:DWORD dst_unused:UNUSED_PAD src0_sel:DWORD src1_sel:WORD_1
	v_mul_f16_sdwa v95, v85, v11 dst_sel:DWORD dst_unused:UNUSED_PAD src0_sel:DWORD src1_sel:WORD_1
	v_sub_f16_e32 v113, v5, v28
	v_sub_f16_e32 v120, v37, v39
	v_add_f16_e32 v111, v111, v112
	v_fma_f16 v1, -0.5, v115, v100
	v_add_f16_e32 v112, v116, v117
	v_fma_f16 v3, -0.5, v118, v68
	;; [unrolled: 2-line block ×4, first 2 shown]
	v_add_f16_e32 v36, v37, v36
	v_add_f16_e32 v37, v4, v5
	v_sub_f16_e32 v68, v6, v40
	v_sub_f16_e32 v116, v73, v74
	v_add_f16_e32 v121, v40, v74
	v_sub_f16_e32 v122, v7, v24
	v_sub_f16_e32 v123, v69, v42
	;; [unrolled: 3-line block ×4, first 2 shown]
	v_add_f16_e32 v132, v7, v69
	v_add_f16_e32 v133, v6, v101
	;; [unrolled: 1-line block ×3, first 2 shown]
	v_fmac_f16_e32 v70, v107, v8
	v_fmac_f16_e32 v71, v96, v9
	;; [unrolled: 1-line block ×4, first 2 shown]
	v_fma_f16 v65, v65, v9, -v76
	v_fma_f16 v66, v66, v10, -v88
	;; [unrolled: 1-line block ×4, first 2 shown]
	s_waitcnt vmcnt(3)
	v_mul_f16_sdwa v76, v60, v16 dst_sel:DWORD dst_unused:UNUSED_PAD src0_sel:DWORD src1_sel:WORD_1
	v_mul_f16_sdwa v85, v61, v17 dst_sel:DWORD dst_unused:UNUSED_PAD src0_sel:DWORD src1_sel:WORD_1
	v_mul_f16_sdwa v88, v59, v19 dst_sel:DWORD dst_unused:UNUSED_PAD src0_sel:DWORD src1_sel:WORD_1
	v_sub_f16_e32 v117, v24, v42
	v_sub_f16_e32 v125, v6, v73
	;; [unrolled: 1-line block ×3, first 2 shown]
	v_mul_f16_sdwa v89, v62, v18 dst_sel:DWORD dst_unused:UNUSED_PAD src0_sel:DWORD src1_sel:WORD_1
	v_mul_f16_sdwa v90, v97, v17 dst_sel:DWORD dst_unused:UNUSED_PAD src0_sel:DWORD src1_sel:WORD_1
	v_mul_f16_sdwa v95, v91, v18 dst_sel:DWORD dst_unused:UNUSED_PAD src0_sel:DWORD src1_sel:WORD_1
	s_waitcnt lgkmcnt(4)
	v_mul_f16_sdwa v96, v108, v16 dst_sel:DWORD dst_unused:UNUSED_PAD src0_sel:DWORD src1_sel:WORD_1
	v_mul_f16_sdwa v107, v86, v19 dst_sel:DWORD dst_unused:UNUSED_PAD src0_sel:DWORD src1_sel:WORD_1
	v_fmamk_f16 v6, v113, 0x3b9c, v0
	v_add_f16_e32 v36, v39, v36
	v_add_f16_e32 v28, v37, v28
	v_fmac_f16_e32 v0, 0xbb9c, v113
	v_add_f16_e32 v68, v68, v116
	v_fma_f16 v8, -0.5, v121, v101
	v_add_f16_e32 v116, v122, v123
	v_fma_f16 v9, -0.5, v124, v63
	;; [unrolled: 2-line block ×4, first 2 shown]
	v_add_f16_e32 v37, v40, v133
	v_add_f16_e32 v24, v134, v24
	v_sub_f16_e32 v39, v70, v71
	v_sub_f16_e32 v40, v72, v75
	;; [unrolled: 1-line block ×3, first 2 shown]
	v_add_f16_e32 v123, v71, v75
	v_sub_f16_e32 v124, v64, v65
	v_add_f16_e32 v128, v65, v66
	v_sub_f16_e32 v129, v70, v72
	v_sub_f16_e32 v131, v71, v70
	;; [unrolled: 1-line block ×3, first 2 shown]
	v_add_f16_e32 v133, v70, v72
	v_sub_f16_e32 v134, v65, v64
	v_sub_f16_e32 v135, v66, v67
	v_add_f16_e32 v136, v64, v67
	v_add_f16_e32 v70, v70, v102
	;; [unrolled: 1-line block ×3, first 2 shown]
	v_fmac_f16_e32 v76, v108, v16
	v_fmac_f16_e32 v85, v97, v17
	;; [unrolled: 1-line block ×3, first 2 shown]
	v_sub_f16_e32 v118, v7, v69
	v_fmamk_f16 v4, v114, 0x3b9c, v1
	v_fmamk_f16 v5, v119, 0xbb9c, v3
	;; [unrolled: 1-line block ×3, first 2 shown]
	v_fmac_f16_e32 v1, 0xbb9c, v114
	v_fmac_f16_e32 v2, 0x3b9c, v120
	v_fmac_f16_e32 v3, 0x3b9c, v119
	v_sub_f16_e32 v63, v65, v66
	v_sub_f16_e32 v127, v67, v66
	v_fmac_f16_e32 v89, v91, v18
	v_fma_f16 v61, v61, v17, -v90
	v_fma_f16 v62, v62, v18, -v95
	;; [unrolled: 1-line block ×4, first 2 shown]
	v_fmac_f16_e32 v6, 0xb8b4, v114
	v_add_f16_e32 v16, v38, v36
	v_fmac_f16_e32 v0, 0x38b4, v114
	v_add_f16_e32 v74, v74, v37
	v_add_f16_e32 v24, v24, v42
	;; [unrolled: 1-line block ×3, first 2 shown]
	v_fma_f16 v38, -0.5, v123, v102
	v_fma_f16 v39, -0.5, v128, v58
	v_add_f16_e32 v114, v131, v132
	v_fma_f16 v36, -0.5, v133, v102
	v_add_f16_e32 v102, v134, v135
	;; [unrolled: 2-line block ×3, first 2 shown]
	v_add_f16_e32 v64, v64, v65
	v_sub_f16_e32 v65, v76, v85
	v_sub_f16_e32 v128, v76, v88
	;; [unrolled: 1-line block ×3, first 2 shown]
	v_add_f16_e32 v134, v76, v88
	v_add_f16_e32 v76, v76, v103
	s_waitcnt vmcnt(2)
	v_mul_f16_sdwa v90, v57, v13 dst_sel:DWORD dst_unused:UNUSED_PAD src0_sel:DWORD src1_sel:WORD_1
	v_mul_f16_sdwa v95, v53, v14 dst_sel:DWORD dst_unused:UNUSED_PAD src0_sel:DWORD src1_sel:WORD_1
	;; [unrolled: 1-line block ×4, first 2 shown]
	v_fmac_f16_e32 v4, 0x38b4, v113
	v_fmac_f16_e32 v5, 0xb8b4, v120
	;; [unrolled: 1-line block ×6, first 2 shown]
	v_fmamk_f16 v18, v118, 0x3b9c, v8
	v_fmac_f16_e32 v8, 0xbb9c, v118
	v_add_f16_e32 v113, v124, v127
	v_sub_f16_e32 v70, v88, v89
	v_sub_f16_e32 v119, v60, v59
	v_add_f16_e32 v120, v85, v89
	v_sub_f16_e32 v123, v60, v61
	v_add_f16_e32 v127, v61, v62
	;; [unrolled: 2-line block ×3, first 2 shown]
	v_add_f16_e32 v60, v56, v60
	v_add_f16_e32 v40, v69, v24
	v_fmamk_f16 v69, v122, 0x3b9c, v38
	v_fmac_f16_e32 v38, 0xbb9c, v122
	v_add_f16_e32 v24, v75, v58
	v_add_f16_e32 v76, v85, v76
	v_sub_f16_e32 v130, v71, v75
	v_mul_f16_sdwa v86, v55, v12 dst_sel:DWORD dst_unused:UNUSED_PAD src0_sel:DWORD src1_sel:WORD_1
	v_mul_f16_sdwa v91, v54, v15 dst_sel:DWORD dst_unused:UNUSED_PAD src0_sel:DWORD src1_sel:WORD_1
	s_waitcnt lgkmcnt(3)
	v_mul_f16_sdwa v107, v109, v12 dst_sel:DWORD dst_unused:UNUSED_PAD src0_sel:DWORD src1_sel:WORD_1
	v_mul_f16_sdwa v108, v35, v15 dst_sel:DWORD dst_unused:UNUSED_PAD src0_sel:DWORD src1_sel:WORD_1
	v_sub_f16_e32 v71, v61, v62
	v_fmac_f16_e32 v90, v98, v13
	v_fmac_f16_e32 v95, v92, v14
	v_fma_f16 v57, v57, v13, -v96
	v_fmac_f16_e32 v18, 0x38b4, v117
	v_fmac_f16_e32 v8, 0xb8b4, v117
	v_add_f16_e32 v58, v64, v66
	v_add_f16_e32 v64, v65, v70
	v_fma_f16 v65, -0.5, v120, v103
	v_fma_f16 v70, -0.5, v127, v56
	;; [unrolled: 1-line block ×3, first 2 shown]
	v_add_f16_e32 v60, v60, v61
	v_fmac_f16_e32 v69, 0x38b4, v63
	v_fmac_f16_e32 v38, 0xb8b4, v63
	v_add_f16_e32 v61, v72, v24
	v_add_f16_e32 v24, v89, v76
	v_fma_f16 v14, v53, v14, -v97
	v_sub_f16_e32 v124, v59, v62
	v_sub_f16_e32 v131, v85, v89
	;; [unrolled: 1-line block ×3, first 2 shown]
	v_fmac_f16_e32 v86, v109, v12
	v_add_f16_e32 v13, v73, v74
	v_fmamk_f16 v74, v63, 0xbb9c, v36
	v_fmac_f16_e32 v36, 0x3b9c, v63
	v_fmac_f16_e32 v18, 0x34f2, v68
	v_fmac_f16_e32 v8, 0x34f2, v68
	v_add_f16_e32 v58, v67, v58
	v_fmamk_f16 v63, v119, 0x3b9c, v65
	v_fmamk_f16 v67, v128, 0xbb9c, v70
	;; [unrolled: 1-line block ×3, first 2 shown]
	v_fmac_f16_e32 v96, 0x3b9c, v71
	v_fmac_f16_e32 v65, 0xbb9c, v119
	v_fmac_f16_e32 v70, 0x3b9c, v128
	v_add_f16_e32 v60, v60, v62
	v_fmac_f16_e32 v69, 0x34f2, v42
	v_fmac_f16_e32 v38, 0x34f2, v42
	v_add_f16_e32 v42, v88, v24
	v_fma_f16 v12, v55, v12, -v107
	v_fma_f16 v24, v54, v15, -v108
	v_add_f16_e32 v53, v90, v95
	v_fmac_f16_e32 v91, v35, v15
	v_add_f16_e32 v15, v57, v14
	v_sub_f16_e32 v136, v62, v59
	v_add_f16_e32 v66, v123, v124
	v_add_f16_e32 v75, v132, v133
	v_fmac_f16_e32 v63, 0x38b4, v71
	v_fmac_f16_e32 v67, 0xb8b4, v131
	;; [unrolled: 1-line block ×6, first 2 shown]
	v_add_f16_e32 v59, v59, v60
	v_sub_f16_e32 v54, v12, v24
	v_fma_f16 v53, -0.5, v53, v104
	v_fma_f16 v60, -0.5, v15, v52
	v_sub_f16_e32 v15, v86, v91
	v_fmac_f16_e32 v63, 0x34f2, v64
	v_fmac_f16_e32 v67, 0x34f2, v66
	v_fmac_f16_e32 v68, 0x34f2, v75
	v_fmac_f16_e32 v96, 0x34f2, v75
	v_fmac_f16_e32 v65, 0x34f2, v64
	v_fmac_f16_e32 v70, 0x34f2, v66
	v_sub_f16_e32 v35, v86, v90
	v_sub_f16_e32 v55, v91, v95
	;; [unrolled: 1-line block ×3, first 2 shown]
	v_fmamk_f16 v64, v54, 0x3b9c, v53
	v_sub_f16_e32 v66, v12, v57
	v_sub_f16_e32 v71, v24, v14
	v_fmamk_f16 v75, v15, 0xbb9c, v60
	v_sub_f16_e32 v76, v90, v95
	v_fmac_f16_e32 v53, 0xbb9c, v54
	v_fmac_f16_e32 v60, 0x3b9c, v15
	v_add_f16_e32 v35, v35, v55
	v_fmac_f16_e32 v64, 0x38b4, v62
	v_add_f16_e32 v55, v66, v71
	;; [unrolled: 2-line block ×3, first 2 shown]
	v_fmac_f16_e32 v53, 0xb8b4, v62
	v_fmac_f16_e32 v60, 0x38b4, v76
	;; [unrolled: 1-line block ×4, first 2 shown]
	v_fma_f16 v66, -0.5, v66, v104
	v_fmac_f16_e32 v53, 0x34f2, v35
	v_sub_f16_e32 v35, v90, v86
	v_sub_f16_e32 v71, v95, v91
	v_add_f16_e32 v88, v12, v24
	v_fmac_f16_e32 v60, 0x34f2, v55
	v_add_f16_e32 v55, v86, v104
	v_fmamk_f16 v85, v62, 0xbb9c, v66
	v_add_f16_e32 v35, v35, v71
	v_fma_f16 v71, -0.5, v88, v52
	v_fmac_f16_e32 v66, 0x3b9c, v62
	v_add_f16_e32 v55, v90, v55
	v_sub_f16_e32 v62, v57, v12
	v_add_f16_e32 v12, v52, v12
	v_fmac_f16_e32 v85, 0x38b4, v54
	v_sub_f16_e32 v86, v14, v24
	v_fmamk_f16 v88, v76, 0x3b9c, v71
	v_fmac_f16_e32 v66, 0xb8b4, v54
	v_add_f16_e32 v54, v95, v55
	v_fmac_f16_e32 v71, 0xbb9c, v76
	v_add_f16_e32 v12, v12, v57
	;; [unrolled: 2-line block ×3, first 2 shown]
	v_fmac_f16_e32 v88, 0xb8b4, v15
	v_fmac_f16_e32 v66, 0x34f2, v35
	v_add_f16_e32 v35, v91, v54
	v_fmac_f16_e32 v71, 0x38b4, v15
	s_waitcnt vmcnt(1)
	v_mul_f16_sdwa v15, v51, v77 dst_sel:DWORD dst_unused:UNUSED_PAD src0_sel:DWORD src1_sel:WORD_1
	v_mul_f16_sdwa v52, v48, v78 dst_sel:DWORD dst_unused:UNUSED_PAD src0_sel:DWORD src1_sel:WORD_1
	v_add_f16_e32 v12, v12, v14
	v_mul_f16_sdwa v14, v49, v79 dst_sel:DWORD dst_unused:UNUSED_PAD src0_sel:DWORD src1_sel:WORD_1
	v_mul_f16_sdwa v54, v50, v80 dst_sel:DWORD dst_unused:UNUSED_PAD src0_sel:DWORD src1_sel:WORD_1
	v_fmac_f16_e32 v88, 0x34f2, v55
	v_fmac_f16_e32 v71, 0x34f2, v55
	s_waitcnt lgkmcnt(2)
	v_fmac_f16_e32 v15, v110, v77
	v_fmac_f16_e32 v52, v105, v78
	v_mul_f16_sdwa v55, v110, v77 dst_sel:DWORD dst_unused:UNUSED_PAD src0_sel:DWORD src1_sel:WORD_1
	v_mul_f16_sdwa v57, v41, v80 dst_sel:DWORD dst_unused:UNUSED_PAD src0_sel:DWORD src1_sel:WORD_1
	v_fmac_f16_e32 v14, v93, v79
	v_mul_f16_sdwa v62, v105, v78 dst_sel:DWORD dst_unused:UNUSED_PAD src0_sel:DWORD src1_sel:WORD_1
	v_mul_f16_sdwa v76, v93, v79 dst_sel:DWORD dst_unused:UNUSED_PAD src0_sel:DWORD src1_sel:WORD_1
	v_fmac_f16_e32 v54, v41, v80
	v_fma_f16 v51, v51, v77, -v55
	v_fma_f16 v50, v50, v80, -v57
	;; [unrolled: 1-line block ×4, first 2 shown]
	v_sub_f16_e32 v57, v15, v52
	v_sub_f16_e32 v76, v54, v14
	v_fma_f16 v56, -0.5, v137, v56
	v_add_f16_e32 v41, v52, v14
	v_add_f16_e32 v62, v48, v49
	v_sub_f16_e32 v79, v50, v49
	v_add_f16_e32 v57, v57, v76
	v_sub_f16_e32 v76, v51, v48
	v_add_f16_e32 v86, v15, v54
	v_fmamk_f16 v72, v131, 0x3b9c, v56
	v_fmac_f16_e32 v56, 0xbb9c, v131
	v_sub_f16_e32 v55, v51, v50
	s_waitcnt lgkmcnt(1)
	v_fma_f16 v41, -0.5, v41, v26
	v_add_f16_e32 v12, v24, v12
	v_fma_f16 v24, -0.5, v62, v43
	v_sub_f16_e32 v62, v15, v54
	v_add_f16_e32 v90, v51, v50
	v_add_f16_e32 v76, v76, v79
	v_fma_f16 v79, -0.5, v86, v26
	v_sub_f16_e32 v86, v52, v15
	v_add_f16_e32 v15, v15, v26
	v_add_f16_e32 v98, v135, v136
	v_fmac_f16_e32 v72, 0xb8b4, v128
	v_fmac_f16_e32 v56, 0x38b4, v128
	v_sub_f16_e32 v77, v48, v49
	v_fmamk_f16 v78, v55, 0x3b9c, v41
	v_sub_f16_e32 v89, v52, v14
	v_fma_f16 v90, -0.5, v90, v43
	v_fmac_f16_e32 v41, 0xbb9c, v55
	v_add_f16_e32 v15, v52, v15
	v_add_f16_e32 v26, v43, v51
	v_fmac_f16_e32 v72, 0x34f2, v98
	v_fmac_f16_e32 v56, 0x34f2, v98
	v_fmac_f16_e32 v78, 0x38b4, v77
	v_sub_f16_e32 v91, v14, v54
	v_fmamk_f16 v93, v77, 0xbb9c, v79
	v_sub_f16_e32 v95, v48, v51
	v_fmamk_f16 v98, v89, 0x3b9c, v90
	v_fmac_f16_e32 v79, 0x3b9c, v77
	v_fmac_f16_e32 v90, 0xbb9c, v89
	;; [unrolled: 1-line block ×3, first 2 shown]
	s_waitcnt vmcnt(0)
	v_mul_f16_sdwa v43, v45, v81 dst_sel:DWORD dst_unused:UNUSED_PAD src0_sel:DWORD src1_sel:WORD_1
	v_mul_f16_sdwa v51, v44, v82 dst_sel:DWORD dst_unused:UNUSED_PAD src0_sel:DWORD src1_sel:WORD_1
	v_add_f16_e32 v14, v14, v15
	v_add_f16_e32 v15, v26, v48
	v_mul_f16_sdwa v26, v46, v83 dst_sel:DWORD dst_unused:UNUSED_PAD src0_sel:DWORD src1_sel:WORD_1
	v_mul_f16_sdwa v48, v47, v84 dst_sel:DWORD dst_unused:UNUSED_PAD src0_sel:DWORD src1_sel:WORD_1
	v_fmamk_f16 v80, v62, 0xbb9c, v24
	v_fmac_f16_e32 v78, 0x34f2, v57
	v_fmac_f16_e32 v93, 0x38b4, v55
	;; [unrolled: 1-line block ×9, first 2 shown]
	v_mul_f16_sdwa v52, v99, v81 dst_sel:DWORD dst_unused:UNUSED_PAD src0_sel:DWORD src1_sel:WORD_1
	v_mul_f16_sdwa v55, v87, v84 dst_sel:DWORD dst_unused:UNUSED_PAD src0_sel:DWORD src1_sel:WORD_1
	v_fmac_f16_e32 v26, v94, v83
	v_mul_f16_sdwa v57, v106, v82 dst_sel:DWORD dst_unused:UNUSED_PAD src0_sel:DWORD src1_sel:WORD_1
	v_mul_f16_sdwa v62, v94, v83 dst_sel:DWORD dst_unused:UNUSED_PAD src0_sel:DWORD src1_sel:WORD_1
	v_fmac_f16_e32 v48, v87, v84
	v_sub_f16_e32 v97, v49, v50
	v_fma_f16 v45, v45, v81, -v52
	v_fma_f16 v47, v47, v84, -v55
	;; [unrolled: 1-line block ×4, first 2 shown]
	v_add_f16_e32 v15, v15, v49
	v_sub_f16_e32 v49, v43, v51
	v_sub_f16_e32 v57, v48, v26
	v_add_f16_e32 v52, v51, v26
	v_add_f16_e32 v54, v54, v14
	;; [unrolled: 1-line block ×5, first 2 shown]
	v_sub_f16_e32 v49, v45, v44
	v_sub_f16_e32 v57, v47, v46
	v_add_f16_e32 v81, v43, v48
	v_sub_f16_e32 v83, v51, v26
	v_fmac_f16_e32 v80, 0xb8b4, v89
	v_fmac_f16_e32 v24, 0x38b4, v89
	v_add_f16_e32 v49, v49, v57
	v_add_f16_e32 v57, v45, v47
	v_sub_f16_e32 v55, v45, v47
	s_waitcnt lgkmcnt(0)
	v_fma_f16 v52, -0.5, v52, v21
	v_fma_f16 v77, -0.5, v14, v32
	v_sub_f16_e32 v14, v43, v48
	v_fma_f16 v57, -0.5, v57, v32
	v_fma_f16 v81, -0.5, v81, v21
	v_add_f16_e32 v21, v43, v21
	v_fmac_f16_e32 v80, 0x34f2, v76
	v_add_f16_e32 v86, v86, v91
	v_fmamk_f16 v94, v83, 0x3b9c, v57
	v_fmac_f16_e32 v57, 0xbb9c, v83
	v_fmac_f16_e32 v24, 0x34f2, v76
	v_sub_f16_e32 v62, v44, v46
	v_fmamk_f16 v76, v55, 0x3b9c, v52
	v_fmamk_f16 v82, v14, 0xbb9c, v77
	v_fmac_f16_e32 v94, 0xb8b4, v14
	v_fmac_f16_e32 v57, 0x38b4, v14
	;; [unrolled: 1-line block ×4, first 2 shown]
	v_add_f16_e32 v14, v51, v21
	v_add_f16_e32 v21, v32, v45
	;; [unrolled: 1-line block ×3, first 2 shown]
	v_fmac_f16_e32 v93, 0x34f2, v86
	v_fmac_f16_e32 v79, 0x34f2, v86
	;; [unrolled: 1-line block ×3, first 2 shown]
	v_sub_f16_e32 v86, v26, v48
	v_fmac_f16_e32 v52, 0xb8b4, v62
	v_add_f16_e32 v14, v26, v14
	v_add_f16_e32 v26, v21, v44
	v_mov_b32_e32 v21, v25
	v_fmac_f16_e32 v98, 0x34f2, v91
	v_fmac_f16_e32 v90, 0x34f2, v91
	v_sub_f16_e32 v84, v51, v43
	v_fmamk_f16 v87, v62, 0xbb9c, v81
	v_sub_f16_e32 v89, v44, v45
	v_sub_f16_e32 v91, v46, v47
	v_fmac_f16_e32 v81, 0x3b9c, v62
	v_fmac_f16_e32 v76, 0x34f2, v15
	;; [unrolled: 1-line block ×3, first 2 shown]
	v_add_f16_e32 v32, v48, v14
	v_lshlrev_b64 v[14:15], 2, v[20:21]
	v_add_f16_e32 v26, v26, v46
	v_add_co_u32 v20, vcc_lo, s2, v22
	v_fmac_f16_e32 v77, 0x38b4, v83
	v_add_f16_e32 v84, v84, v86
	v_add_f16_e32 v86, v89, v91
	v_fmac_f16_e32 v81, 0xb8b4, v55
	v_add_co_ci_u32_e32 v21, vcc_lo, s3, v23, vcc_lo
	v_add_f16_e32 v22, v47, v26
	v_add_co_u32 v14, vcc_lo, v20, v14
	v_fmac_f16_e32 v77, 0x34f2, v49
	v_fmac_f16_e32 v81, 0x34f2, v84
	;; [unrolled: 1-line block ×3, first 2 shown]
	v_add_co_ci_u32_e32 v15, vcc_lo, v21, v15, vcc_lo
	v_mul_hi_u32 v21, 0x44d72045, v27
	v_fmac_f16_e32 v87, 0x38b4, v55
	v_fmac_f16_e32 v82, 0xb8b4, v83
	v_pack_b32_f16 v20, v22, v32
	v_pack_b32_f16 v22, v77, v52
	;; [unrolled: 1-line block ×3, first 2 shown]
	v_fmac_f16_e32 v87, 0x34f2, v84
	v_fmac_f16_e32 v94, 0x34f2, v86
	;; [unrolled: 1-line block ×3, first 2 shown]
	global_store_dword v[14:15], v20, off
	global_store_dword v[14:15], v22, off offset:476
	global_store_dword v[14:15], v23, off offset:952
	v_lshrrev_b32_e32 v20, 5, v21
	v_pack_b32_f16 v22, v50, v54
	v_pack_b32_f16 v26, v94, v87
	;; [unrolled: 1-line block ×4, first 2 shown]
	v_mul_u32_u24_e32 v24, 0x1dc, v20
	v_pack_b32_f16 v12, v12, v35
	global_store_dword v[14:15], v26, off offset:1428
	global_store_dword v[14:15], v21, off offset:1904
	;; [unrolled: 1-line block ×4, first 2 shown]
	v_mul_hi_u32 v22, 0x44d72045, v33
	v_lshlrev_b64 v[20:21], 2, v[24:25]
	v_pack_b32_f16 v26, v90, v79
	v_pack_b32_f16 v23, v98, v93
	v_pack_b32_f16 v24, v80, v78
	v_pack_b32_f16 v27, v75, v64
	v_fmamk_f16 v73, v129, 0xbb9c, v39
	v_add_co_u32 v20, vcc_lo, v14, v20
	v_lshrrev_b32_e32 v22, 5, v22
	v_add_co_ci_u32_e32 v21, vcc_lo, v15, v21, vcc_lo
	global_store_dword v[14:15], v26, off offset:1020
	global_store_dword v[14:15], v23, off offset:1496
	v_pack_b32_f16 v23, v60, v53
	global_store_dword v[14:15], v24, off offset:1972
	global_store_dword v[20:21], v12, off offset:136
	v_mul_u32_u24_e32 v24, 0x1dc, v22
	v_pack_b32_f16 v12, v71, v66
	v_pack_b32_f16 v26, v88, v85
	global_store_dword v[20:21], v23, off offset:612
	v_fmac_f16_e32 v39, 0x3b9c, v129
	v_lshlrev_b64 v[22:23], 2, v[24:25]
	global_store_dword v[20:21], v12, off offset:1088
	v_mul_hi_u32 v12, 0x44d72045, v31
	global_store_dword v[20:21], v26, off offset:1564
	global_store_dword v[20:21], v27, off offset:2040
	v_pack_b32_f16 v24, v59, v42
	v_pack_b32_f16 v26, v70, v65
	v_add_co_u32 v20, vcc_lo, v14, v22
	v_add_co_ci_u32_e32 v21, vcc_lo, v15, v23, vcc_lo
	v_lshrrev_b32_e32 v12, 5, v12
	v_pack_b32_f16 v31, v72, v68
	v_fmac_f16_e32 v39, 0x38b4, v130
	global_store_dword v[20:21], v24, off offset:204
	global_store_dword v[20:21], v26, off offset:680
	v_mul_u32_u24_e32 v24, 0x1dc, v12
	v_pack_b32_f16 v12, v56, v96
	global_store_dword v[20:21], v12, off offset:1156
	global_store_dword v[20:21], v31, off offset:1632
	v_lshlrev_b64 v[26:27], 2, v[24:25]
	v_mul_hi_u32 v12, 0x44d72045, v30
	v_add_co_u32 v22, vcc_lo, 0xcc, v20
	v_add_co_ci_u32_e32 v23, vcc_lo, 0, v21, vcc_lo
	v_fmamk_f16 v92, v130, 0x3b9c, v37
	v_fmac_f16_e32 v37, 0xbb9c, v130
	v_add_co_u32 v20, vcc_lo, v14, v26
	v_fmac_f16_e32 v39, 0x34f2, v113
	v_pack_b32_f16 v32, v67, v63
	v_add_co_ci_u32_e32 v21, vcc_lo, v15, v27, vcc_lo
	v_pack_b32_f16 v24, v58, v61
	v_lshrrev_b32_e32 v12, 5, v12
	v_fmac_f16_e32 v36, 0xb8b4, v122
	v_fmac_f16_e32 v37, 0x38b4, v129
	;; [unrolled: 1-line block ×5, first 2 shown]
	global_store_dword v[22:23], v32, off offset:1904
	v_pack_b32_f16 v26, v39, v38
	global_store_dword v[20:21], v24, off offset:272
	v_mul_u32_u24_e32 v24, 0x1dc, v12
	v_fmac_f16_e32 v36, 0x34f2, v114
	v_fmac_f16_e32 v37, 0x34f2, v102
	;; [unrolled: 1-line block ×5, first 2 shown]
	global_store_dword v[20:21], v26, off offset:748
	v_lshlrev_b64 v[26:27], 2, v[24:25]
	v_mul_hi_u32 v24, 0x44d72045, v29
	v_fmamk_f16 v19, v125, 0xbb9c, v9
	v_fmac_f16_e32 v9, 0x3b9c, v125
	v_add_co_u32 v22, vcc_lo, 0x110, v20
	v_pack_b32_f16 v12, v37, v36
	v_pack_b32_f16 v30, v92, v74
	v_add_f16_e32 v17, v34, v28
	v_fmamk_f16 v28, v117, 0xbb9c, v10
	v_fmamk_f16 v34, v126, 0x3b9c, v11
	v_fmac_f16_e32 v10, 0x3b9c, v117
	v_fmac_f16_e32 v11, 0xbb9c, v126
	v_add_co_ci_u32_e32 v23, vcc_lo, 0, v21, vcc_lo
	v_pack_b32_f16 v31, v73, v69
	v_fmac_f16_e32 v9, 0x38b4, v126
	global_store_dword v[20:21], v12, off offset:1224
	global_store_dword v[20:21], v30, off offset:1700
	;; [unrolled: 1-line block ×3, first 2 shown]
	v_lshrrev_b32_e32 v12, 5, v24
	v_fmac_f16_e32 v10, 0xb8b4, v118
	v_fmac_f16_e32 v11, 0x38b4, v125
	;; [unrolled: 1-line block ×5, first 2 shown]
	v_mul_u32_u24_e32 v24, 0x1dc, v12
	v_fmac_f16_e32 v19, 0xb8b4, v126
	v_fmac_f16_e32 v10, 0x34f2, v121
	;; [unrolled: 1-line block ×5, first 2 shown]
	v_add_co_u32 v20, vcc_lo, v14, v26
	v_add_co_ci_u32_e32 v21, vcc_lo, v15, v27, vcc_lo
	v_pack_b32_f16 v12, v9, v8
	v_lshlrev_b64 v[8:9], 2, v[24:25]
	v_fmac_f16_e32 v19, 0x34f2, v116
	v_pack_b32_f16 v13, v40, v13
	v_pack_b32_f16 v10, v11, v10
	v_add_co_u32 v22, vcc_lo, 0x154, v20
	v_pack_b32_f16 v11, v34, v28
	v_fmac_f16_e32 v1, 0x34f2, v111
	v_fmac_f16_e32 v3, 0x34f2, v112
	v_add_co_ci_u32_e32 v23, vcc_lo, 0, v21, vcc_lo
	v_fmac_f16_e32 v6, 0x34f2, v115
	v_fmac_f16_e32 v7, 0x34f2, v100
	global_store_dword v[20:21], v13, off offset:340
	global_store_dword v[20:21], v12, off offset:816
	;; [unrolled: 1-line block ×4, first 2 shown]
	v_pack_b32_f16 v10, v19, v18
	v_add_co_u32 v8, vcc_lo, v14, v8
	v_fmac_f16_e32 v0, 0x34f2, v115
	v_fmac_f16_e32 v2, 0x34f2, v100
	;; [unrolled: 1-line block ×4, first 2 shown]
	v_add_co_ci_u32_e32 v9, vcc_lo, v15, v9, vcc_lo
	v_pack_b32_f16 v12, v17, v16
	v_pack_b32_f16 v1, v3, v1
	global_store_dword v[22:23], v10, off offset:1904
	v_add_co_u32 v10, vcc_lo, 0x198, v8
	v_pack_b32_f16 v3, v7, v6
	v_pack_b32_f16 v0, v2, v0
	v_add_co_ci_u32_e32 v11, vcc_lo, 0, v9, vcc_lo
	v_pack_b32_f16 v2, v5, v4
	global_store_dword v[8:9], v12, off offset:408
	global_store_dword v[8:9], v1, off offset:884
	;; [unrolled: 1-line block ×5, first 2 shown]
.LBB0_20:
	s_endpgm
	.section	.rodata,"a",@progbits
	.p2align	6, 0x0
	.amdhsa_kernel fft_rtc_fwd_len595_factors_7_17_5_wgs_51_tpt_17_halfLds_half_ip_CI_unitstride_sbrr_dirReg
		.amdhsa_group_segment_fixed_size 0
		.amdhsa_private_segment_fixed_size 0
		.amdhsa_kernarg_size 88
		.amdhsa_user_sgpr_count 6
		.amdhsa_user_sgpr_private_segment_buffer 1
		.amdhsa_user_sgpr_dispatch_ptr 0
		.amdhsa_user_sgpr_queue_ptr 0
		.amdhsa_user_sgpr_kernarg_segment_ptr 1
		.amdhsa_user_sgpr_dispatch_id 0
		.amdhsa_user_sgpr_flat_scratch_init 0
		.amdhsa_user_sgpr_private_segment_size 0
		.amdhsa_wavefront_size32 1
		.amdhsa_uses_dynamic_stack 0
		.amdhsa_system_sgpr_private_segment_wavefront_offset 0
		.amdhsa_system_sgpr_workgroup_id_x 1
		.amdhsa_system_sgpr_workgroup_id_y 0
		.amdhsa_system_sgpr_workgroup_id_z 0
		.amdhsa_system_sgpr_workgroup_info 0
		.amdhsa_system_vgpr_workitem_id 0
		.amdhsa_next_free_vgpr 200
		.amdhsa_next_free_sgpr 21
		.amdhsa_reserve_vcc 1
		.amdhsa_reserve_flat_scratch 0
		.amdhsa_float_round_mode_32 0
		.amdhsa_float_round_mode_16_64 0
		.amdhsa_float_denorm_mode_32 3
		.amdhsa_float_denorm_mode_16_64 3
		.amdhsa_dx10_clamp 1
		.amdhsa_ieee_mode 1
		.amdhsa_fp16_overflow 0
		.amdhsa_workgroup_processor_mode 1
		.amdhsa_memory_ordered 1
		.amdhsa_forward_progress 0
		.amdhsa_shared_vgpr_count 0
		.amdhsa_exception_fp_ieee_invalid_op 0
		.amdhsa_exception_fp_denorm_src 0
		.amdhsa_exception_fp_ieee_div_zero 0
		.amdhsa_exception_fp_ieee_overflow 0
		.amdhsa_exception_fp_ieee_underflow 0
		.amdhsa_exception_fp_ieee_inexact 0
		.amdhsa_exception_int_div_zero 0
	.end_amdhsa_kernel
	.text
.Lfunc_end0:
	.size	fft_rtc_fwd_len595_factors_7_17_5_wgs_51_tpt_17_halfLds_half_ip_CI_unitstride_sbrr_dirReg, .Lfunc_end0-fft_rtc_fwd_len595_factors_7_17_5_wgs_51_tpt_17_halfLds_half_ip_CI_unitstride_sbrr_dirReg
                                        ; -- End function
	.section	.AMDGPU.csdata,"",@progbits
; Kernel info:
; codeLenInByte = 28204
; NumSgprs: 23
; NumVgprs: 200
; ScratchSize: 0
; MemoryBound: 0
; FloatMode: 240
; IeeeMode: 1
; LDSByteSize: 0 bytes/workgroup (compile time only)
; SGPRBlocks: 2
; VGPRBlocks: 24
; NumSGPRsForWavesPerEU: 23
; NumVGPRsForWavesPerEU: 200
; Occupancy: 4
; WaveLimiterHint : 1
; COMPUTE_PGM_RSRC2:SCRATCH_EN: 0
; COMPUTE_PGM_RSRC2:USER_SGPR: 6
; COMPUTE_PGM_RSRC2:TRAP_HANDLER: 0
; COMPUTE_PGM_RSRC2:TGID_X_EN: 1
; COMPUTE_PGM_RSRC2:TGID_Y_EN: 0
; COMPUTE_PGM_RSRC2:TGID_Z_EN: 0
; COMPUTE_PGM_RSRC2:TIDIG_COMP_CNT: 0
	.text
	.p2alignl 6, 3214868480
	.fill 48, 4, 3214868480
	.type	__hip_cuid_bee2fba26d751eff,@object ; @__hip_cuid_bee2fba26d751eff
	.section	.bss,"aw",@nobits
	.globl	__hip_cuid_bee2fba26d751eff
__hip_cuid_bee2fba26d751eff:
	.byte	0                               ; 0x0
	.size	__hip_cuid_bee2fba26d751eff, 1

	.ident	"AMD clang version 19.0.0git (https://github.com/RadeonOpenCompute/llvm-project roc-6.4.0 25133 c7fe45cf4b819c5991fe208aaa96edf142730f1d)"
	.section	".note.GNU-stack","",@progbits
	.addrsig
	.addrsig_sym __hip_cuid_bee2fba26d751eff
	.amdgpu_metadata
---
amdhsa.kernels:
  - .args:
      - .actual_access:  read_only
        .address_space:  global
        .offset:         0
        .size:           8
        .value_kind:     global_buffer
      - .offset:         8
        .size:           8
        .value_kind:     by_value
      - .actual_access:  read_only
        .address_space:  global
        .offset:         16
        .size:           8
        .value_kind:     global_buffer
      - .actual_access:  read_only
        .address_space:  global
        .offset:         24
        .size:           8
        .value_kind:     global_buffer
      - .offset:         32
        .size:           8
        .value_kind:     by_value
      - .actual_access:  read_only
        .address_space:  global
        .offset:         40
        .size:           8
        .value_kind:     global_buffer
      - .actual_access:  read_only
        .address_space:  global
        .offset:         48
        .size:           8
        .value_kind:     global_buffer
      - .offset:         56
        .size:           4
        .value_kind:     by_value
      - .actual_access:  read_only
        .address_space:  global
        .offset:         64
        .size:           8
        .value_kind:     global_buffer
      - .actual_access:  read_only
        .address_space:  global
        .offset:         72
        .size:           8
        .value_kind:     global_buffer
      - .address_space:  global
        .offset:         80
        .size:           8
        .value_kind:     global_buffer
    .group_segment_fixed_size: 0
    .kernarg_segment_align: 8
    .kernarg_segment_size: 88
    .language:       OpenCL C
    .language_version:
      - 2
      - 0
    .max_flat_workgroup_size: 51
    .name:           fft_rtc_fwd_len595_factors_7_17_5_wgs_51_tpt_17_halfLds_half_ip_CI_unitstride_sbrr_dirReg
    .private_segment_fixed_size: 0
    .sgpr_count:     23
    .sgpr_spill_count: 0
    .symbol:         fft_rtc_fwd_len595_factors_7_17_5_wgs_51_tpt_17_halfLds_half_ip_CI_unitstride_sbrr_dirReg.kd
    .uniform_work_group_size: 1
    .uses_dynamic_stack: false
    .vgpr_count:     200
    .vgpr_spill_count: 0
    .wavefront_size: 32
    .workgroup_processor_mode: 1
amdhsa.target:   amdgcn-amd-amdhsa--gfx1030
amdhsa.version:
  - 1
  - 2
...

	.end_amdgpu_metadata
